;; amdgpu-corpus repo=FlagOpen/FlagGems kind=triton arch=gfx950 opt=O3 lang=triton
	.amdgcn_target "amdgcn-amd-amdhsa--gfx950"
	.amdhsa_code_object_version 5
	.text
	.globl	addmm_kernel                    ; -- Begin function addmm_kernel
	.p2align	8
	.type	addmm_kernel,@function
addmm_kernel:                           ; @addmm_kernel
.Lfunc_begin0:
	.cfi_sections .debug_frame
	.cfi_startproc
; %bb.168:
	.file	1 "/root/src/amdgpu-assembly/repos/FlagOpen__FlagGems/triton_aot_kernels" "addmm_aot.py"
	.loc	1 8 0 prologue_end              ; addmm_aot.py:8:0
	s_load_dwordx2 s[2:3], s[0:1], 0x0
	s_load_dwordx8 s[4:11], s[0:1], 0x8
	s_load_dwordx4 s[12:15], s[0:1], 0x28
	s_waitcnt lgkmcnt(0)
	s_branch .LBB0_0
	.loc	1 0 0 is_stmt 0                 ; :0:0
.Ltmp0:
	.p2align	8
; %bb.169:
.LBB0_0:
	s_load_dword s26, s[0:1], 0x38
.Ltmp1:
	.loc	1 69 47 is_stmt 1               ; addmm_aot.py:69:47
	v_readfirstlane_b32 s27, v0
	.loc	1 71 21                         ; addmm_aot.py:71:21
	s_and_b32 s55, s27, 0xc0
	.loc	1 34 50                         ; addmm_aot.py:34:50
	v_and_b32_e32 v19, 63, v0
	v_or_b32_e32 v1, s55, v19
	.loc	1 34 22 is_stmt 0               ; addmm_aot.py:34:22
	s_lshl_b32 s33, s16, 6
	.loc	1 34 50                         ; addmm_aot.py:34:50
	v_lshrrev_b32_e32 v2, 5, v1
	v_and_b32_e32 v66, 31, v0
	.loc	1 34 37                         ; addmm_aot.py:34:37
	v_or_b32_e32 v12, s33, v2
	.loc	1 37 71 is_stmt 1               ; addmm_aot.py:37:71
	s_waitcnt lgkmcnt(0)
	v_mul_lo_u32 v18, s26, v66
.Ltmp2:
	.file	2 "/root/.local/lib/python3.13/site-packages/triton/language" "standard.py"
	.loc	2 43 17                         ; standard.py:43:17 @[ addmm_aot.py:44:33 ]
	s_add_i32 s56, s14, 31
.Ltmp3:
	.loc	1 37 53                         ; addmm_aot.py:37:53
	v_mad_u64_u32 v[2:3], s[18:19], v12, s15, v[18:19]
	.loc	1 44 22                         ; addmm_aot.py:44:22
	s_cmp_gt_i32 s56, 31
	.loc	1 47 37                         ; addmm_aot.py:47:37
	v_cmp_gt_i32_e32 vcc, s12, v12
	.loc	1 47 61 is_stmt 0               ; addmm_aot.py:47:61
	v_cmp_gt_i32_e64 s[22:23], s14, v66
	.loc	1 37 22 is_stmt 1               ; addmm_aot.py:37:22
	v_ashrrev_i32_e32 v3, 31, v2
	.loc	1 44 22                         ; addmm_aot.py:44:22
	s_cselect_b64 s[38:39], -1, 0
	.loc	1 47 43                         ; addmm_aot.py:47:43
	s_and_b64 s[18:19], s[22:23], vcc
	.loc	1 37 22                         ; addmm_aot.py:37:22
	v_lshl_add_u64 v[2:3], v[2:3], 2, s[2:3]
	.loc	1 44 22                         ; addmm_aot.py:44:22
	s_and_b64 s[20:21], s[38:39], s[18:19]
	v_mov_b32_e32 v36, 0
	v_mov_b32_e32 v37, 0
	.loc	1 46 12                         ; addmm_aot.py:46:12
	s_and_saveexec_b64 s[18:19], s[20:21]
	s_cbranch_execz .LBB0_2
; %bb.1:
	global_load_dword v37, v[2:3], off
.LBB0_2:
	.loc	1 0 12 is_stmt 0                ; addmm_aot.py:0:12
	s_or_b64 exec, exec, s[18:19]
	.loc	1 34 37 is_stmt 1               ; addmm_aot.py:34:37
	v_or_b32_e32 v6, 8, v12
	.loc	1 37 53                         ; addmm_aot.py:37:53
	v_mad_u64_u32 v[4:5], s[18:19], v6, s15, v[18:19]
	.loc	1 47 37                         ; addmm_aot.py:47:37
	v_cmp_gt_i32_e64 s[24:25], s12, v6
	.loc	1 37 22                         ; addmm_aot.py:37:22
	v_ashrrev_i32_e32 v5, 31, v4
	.loc	1 47 43                         ; addmm_aot.py:47:43
	s_and_b64 s[18:19], s[22:23], s[24:25]
	.loc	1 37 22                         ; addmm_aot.py:37:22
	v_lshl_add_u64 v[4:5], v[4:5], 2, s[2:3]
	.loc	1 44 22                         ; addmm_aot.py:44:22
	s_and_b64 s[20:21], s[38:39], s[18:19]
	.loc	1 46 12                         ; addmm_aot.py:46:12
	s_and_saveexec_b64 s[18:19], s[20:21]
	s_cbranch_execz .LBB0_4
; %bb.3:
	global_load_dword v36, v[4:5], off
.LBB0_4:
	.loc	1 0 12 is_stmt 0                ; addmm_aot.py:0:12
	s_or_b64 exec, exec, s[18:19]
	.loc	1 34 37 is_stmt 1               ; addmm_aot.py:34:37
	v_or_b32_e32 v8, 16, v12
	.loc	1 37 53                         ; addmm_aot.py:37:53
	v_mad_u64_u32 v[6:7], s[18:19], v8, s15, v[18:19]
	.loc	1 47 37                         ; addmm_aot.py:47:37
	v_cmp_gt_i32_e64 s[28:29], s12, v8
	.loc	1 37 22                         ; addmm_aot.py:37:22
	v_ashrrev_i32_e32 v7, 31, v6
	.loc	1 47 43                         ; addmm_aot.py:47:43
	s_and_b64 s[18:19], s[22:23], s[28:29]
	.loc	1 37 22                         ; addmm_aot.py:37:22
	v_lshl_add_u64 v[6:7], v[6:7], 2, s[2:3]
	.loc	1 44 22                         ; addmm_aot.py:44:22
	s_and_b64 s[20:21], s[38:39], s[18:19]
	v_mov_b32_e32 v38, 0
	v_mov_b32_e32 v39, 0
	.loc	1 46 12                         ; addmm_aot.py:46:12
	s_and_saveexec_b64 s[18:19], s[20:21]
	s_cbranch_execz .LBB0_6
; %bb.5:
	global_load_dword v39, v[6:7], off
.LBB0_6:
	.loc	1 0 12 is_stmt 0                ; addmm_aot.py:0:12
	s_or_b64 exec, exec, s[18:19]
	.loc	1 34 37 is_stmt 1               ; addmm_aot.py:34:37
	v_or_b32_e32 v10, 24, v12
	.loc	1 37 53                         ; addmm_aot.py:37:53
	v_mad_u64_u32 v[8:9], s[18:19], v10, s15, v[18:19]
	.loc	1 47 37                         ; addmm_aot.py:47:37
	v_cmp_gt_i32_e64 s[30:31], s12, v10
	.loc	1 37 22                         ; addmm_aot.py:37:22
	v_ashrrev_i32_e32 v9, 31, v8
	.loc	1 47 43                         ; addmm_aot.py:47:43
	s_and_b64 s[18:19], s[22:23], s[30:31]
	.loc	1 37 22                         ; addmm_aot.py:37:22
	v_lshl_add_u64 v[8:9], v[8:9], 2, s[2:3]
	.loc	1 44 22                         ; addmm_aot.py:44:22
	s_and_b64 s[20:21], s[38:39], s[18:19]
	.loc	1 46 12                         ; addmm_aot.py:46:12
	s_and_saveexec_b64 s[18:19], s[20:21]
	s_cbranch_execz .LBB0_8
; %bb.7:
	global_load_dword v38, v[8:9], off
.LBB0_8:
	.loc	1 0 12 is_stmt 0                ; addmm_aot.py:0:12
	s_or_b64 exec, exec, s[18:19]
	.loc	1 34 37 is_stmt 1               ; addmm_aot.py:34:37
	v_or_b32_e32 v13, 32, v12
	.loc	1 37 53                         ; addmm_aot.py:37:53
	v_mad_u64_u32 v[10:11], s[18:19], v13, s15, v[18:19]
	.loc	1 47 37                         ; addmm_aot.py:47:37
	v_cmp_gt_i32_e64 s[34:35], s12, v13
	.loc	1 37 22                         ; addmm_aot.py:37:22
	v_ashrrev_i32_e32 v11, 31, v10
	.loc	1 47 43                         ; addmm_aot.py:47:43
	s_and_b64 s[18:19], s[22:23], s[34:35]
	;; [unrolled: 46-line block ×3, first 2 shown]
	.loc	1 37 22                         ; addmm_aot.py:37:22
	v_lshl_add_u64 v[16:17], v[16:17], 2, s[2:3]
	.loc	1 44 22                         ; addmm_aot.py:44:22
	s_and_b64 s[40:41], s[38:39], s[20:21]
	v_mov_b32_e32 v42, 0
	v_mov_b32_e32 v43, 0
	.loc	1 46 12                         ; addmm_aot.py:46:12
	s_and_saveexec_b64 s[20:21], s[40:41]
	s_cbranch_execz .LBB0_14
; %bb.13:
	global_load_dword v43, v[16:17], off
.LBB0_14:
	.loc	1 0 12 is_stmt 0                ; addmm_aot.py:0:12
	s_or_b64 exec, exec, s[20:21]
	s_load_dwordx2 s[40:41], s[0:1], 0x3c
	.loc	1 34 37 is_stmt 1               ; addmm_aot.py:34:37
	v_or_b32_e32 v20, 56, v12
	.loc	1 37 53                         ; addmm_aot.py:37:53
	v_mad_u64_u32 v[12:13], s[20:21], v20, s15, v[18:19]
	.loc	1 47 37                         ; addmm_aot.py:47:37
	v_cmp_gt_i32_e64 s[20:21], s12, v20
	.loc	1 37 22                         ; addmm_aot.py:37:22
	v_ashrrev_i32_e32 v13, 31, v12
	.loc	1 47 43                         ; addmm_aot.py:47:43
	s_and_b64 s[22:23], s[22:23], s[20:21]
	.loc	1 37 22                         ; addmm_aot.py:37:22
	v_lshl_add_u64 v[24:25], v[12:13], 2, s[2:3]
	.loc	1 44 22                         ; addmm_aot.py:44:22
	s_and_b64 s[42:43], s[38:39], s[22:23]
	.loc	1 46 12                         ; addmm_aot.py:46:12
	s_and_saveexec_b64 s[22:23], s[42:43]
	s_cbranch_execz .LBB0_16
; %bb.15:
	global_load_dword v42, v[24:25], off
.LBB0_16:
	.loc	1 0 12 is_stmt 0                ; addmm_aot.py:0:12
	s_or_b64 exec, exec, s[22:23]
	.loc	1 35 22 is_stmt 1               ; addmm_aot.py:35:22
	s_lshl_b32 s44, s17, 6
	.loc	1 34 50                         ; addmm_aot.py:34:50
	s_lshr_b32 s54, s55, 6
	.loc	1 35 37                         ; addmm_aot.py:35:37
	v_or_b32_e32 v68, s44, v19
	.loc	1 38 40                         ; addmm_aot.py:38:40
	s_waitcnt lgkmcnt(0)
	s_mul_i32 s57, s54, s40
	.loc	1 38 71 is_stmt 0               ; addmm_aot.py:38:71
	v_mul_lo_u32 v34, s41, v68
	.loc	1 52 36 is_stmt 1               ; addmm_aot.py:52:36
	s_cmp_lt_i32 s54, s14
	.loc	1 38 52                         ; addmm_aot.py:38:52
	v_add_u32_e32 v12, s57, v34
	.loc	1 52 36                         ; addmm_aot.py:52:36
	s_cselect_b64 s[16:17], -1, 0
	.loc	1 52 80 is_stmt 0               ; addmm_aot.py:52:80
	v_cmp_gt_i32_e64 s[22:23], s13, v68
	.loc	1 38 22 is_stmt 1               ; addmm_aot.py:38:22
	v_ashrrev_i32_e32 v13, 31, v12
	.loc	1 52 61                         ; addmm_aot.py:52:61
	s_and_b64 s[16:17], s[22:23], s[16:17]
	.loc	1 38 22                         ; addmm_aot.py:38:22
	v_lshl_add_u64 v[12:13], v[12:13], 2, s[4:5]
	.loc	1 44 22                         ; addmm_aot.py:44:22
	s_and_b64 s[42:43], s[38:39], s[16:17]
	v_mov_b32_e32 v44, 0
	v_mov_b32_e32 v45, 0
	.loc	1 51 12                         ; addmm_aot.py:51:12
	s_and_saveexec_b64 s[16:17], s[42:43]
	s_cbranch_execz .LBB0_18
; %bb.17:
	global_load_dword v45, v[12:13], off
.LBB0_18:
	.loc	1 0 12 is_stmt 0                ; addmm_aot.py:0:12
	s_or_b64 exec, exec, s[16:17]
	.loc	1 34 50 is_stmt 1               ; addmm_aot.py:34:50
	s_or_b32 s53, s54, 4
	.loc	1 38 40                         ; addmm_aot.py:38:40
	s_lshl2_add_u32 s16, s40, s57
	.loc	1 52 36                         ; addmm_aot.py:52:36
	s_cmp_lt_i32 s53, s14
	.loc	1 38 52                         ; addmm_aot.py:38:52
	v_add_u32_e32 v20, s16, v34
	.loc	1 52 36                         ; addmm_aot.py:52:36
	s_cselect_b64 s[16:17], -1, 0
	.loc	1 38 22                         ; addmm_aot.py:38:22
	v_ashrrev_i32_e32 v21, 31, v20
	.loc	1 52 61                         ; addmm_aot.py:52:61
	s_and_b64 s[16:17], s[22:23], s[16:17]
	.loc	1 38 22                         ; addmm_aot.py:38:22
	v_lshl_add_u64 v[20:21], v[20:21], 2, s[4:5]
	.loc	1 44 22                         ; addmm_aot.py:44:22
	s_and_b64 s[42:43], s[38:39], s[16:17]
	.loc	1 51 12                         ; addmm_aot.py:51:12
	s_and_saveexec_b64 s[16:17], s[42:43]
	s_cbranch_execz .LBB0_20
; %bb.19:
	global_load_dword v44, v[20:21], off
.LBB0_20:
	.loc	1 0 12 is_stmt 0                ; addmm_aot.py:0:12
	s_or_b64 exec, exec, s[16:17]
	.loc	1 34 50 is_stmt 1               ; addmm_aot.py:34:50
	s_or_b32 s52, s54, 8
	.loc	1 38 40                         ; addmm_aot.py:38:40
	s_lshl3_add_u32 s16, s40, s57
	.loc	1 52 36                         ; addmm_aot.py:52:36
	s_cmp_lt_i32 s52, s14
	.loc	1 38 52                         ; addmm_aot.py:38:52
	v_add_u32_e32 v22, s16, v34
	.loc	1 52 36                         ; addmm_aot.py:52:36
	s_cselect_b64 s[16:17], -1, 0
	.loc	1 38 22                         ; addmm_aot.py:38:22
	v_ashrrev_i32_e32 v23, 31, v22
	.loc	1 52 61                         ; addmm_aot.py:52:61
	s_and_b64 s[16:17], s[22:23], s[16:17]
	.loc	1 38 22                         ; addmm_aot.py:38:22
	v_lshl_add_u64 v[22:23], v[22:23], 2, s[4:5]
	.loc	1 44 22                         ; addmm_aot.py:44:22
	s_and_b64 s[42:43], s[38:39], s[16:17]
	v_mov_b32_e32 v46, 0
	v_mov_b32_e32 v47, 0
	.loc	1 51 12                         ; addmm_aot.py:51:12
	s_and_saveexec_b64 s[16:17], s[42:43]
	s_cbranch_execz .LBB0_22
; %bb.21:
	global_load_dword v47, v[22:23], off
.LBB0_22:
	.loc	1 0 12 is_stmt 0                ; addmm_aot.py:0:12
	s_or_b64 exec, exec, s[16:17]
	.loc	1 38 40 is_stmt 1               ; addmm_aot.py:38:40
	s_mul_i32 s16, s40, 12
	.loc	1 34 50                         ; addmm_aot.py:34:50
	s_or_b32 s51, s54, 12
	.loc	1 38 40                         ; addmm_aot.py:38:40
	s_add_i32 s16, s57, s16
	.loc	1 52 36                         ; addmm_aot.py:52:36
	s_cmp_lt_i32 s51, s14
	.loc	1 38 52                         ; addmm_aot.py:38:52
	v_add_u32_e32 v26, s16, v34
	.loc	1 52 36                         ; addmm_aot.py:52:36
	s_cselect_b64 s[16:17], -1, 0
	.loc	1 38 22                         ; addmm_aot.py:38:22
	v_ashrrev_i32_e32 v27, 31, v26
	.loc	1 52 61                         ; addmm_aot.py:52:61
	s_and_b64 s[16:17], s[22:23], s[16:17]
	.loc	1 38 22                         ; addmm_aot.py:38:22
	v_lshl_add_u64 v[26:27], v[26:27], 2, s[4:5]
	.loc	1 44 22                         ; addmm_aot.py:44:22
	s_and_b64 s[42:43], s[38:39], s[16:17]
	.loc	1 51 12                         ; addmm_aot.py:51:12
	s_and_saveexec_b64 s[16:17], s[42:43]
	s_cbranch_execz .LBB0_24
; %bb.23:
	global_load_dword v46, v[26:27], off
.LBB0_24:
	.loc	1 0 12 is_stmt 0                ; addmm_aot.py:0:12
	s_or_b64 exec, exec, s[16:17]
	.loc	1 34 50 is_stmt 1               ; addmm_aot.py:34:50
	s_or_b32 s50, s54, 16
	.loc	1 38 40                         ; addmm_aot.py:38:40
	s_lshl4_add_u32 s16, s40, s57
	.loc	1 52 36                         ; addmm_aot.py:52:36
	s_cmp_lt_i32 s50, s14
	.loc	1 38 52                         ; addmm_aot.py:38:52
	v_add_u32_e32 v28, s16, v34
	.loc	1 52 36                         ; addmm_aot.py:52:36
	s_cselect_b64 s[16:17], -1, 0
	.loc	1 38 22                         ; addmm_aot.py:38:22
	v_ashrrev_i32_e32 v29, 31, v28
	.loc	1 52 61                         ; addmm_aot.py:52:61
	s_and_b64 s[16:17], s[22:23], s[16:17]
	.loc	1 38 22                         ; addmm_aot.py:38:22
	v_lshl_add_u64 v[28:29], v[28:29], 2, s[4:5]
	.loc	1 44 22                         ; addmm_aot.py:44:22
	s_and_b64 s[42:43], s[38:39], s[16:17]
	v_mov_b32_e32 v48, 0
	v_mov_b32_e32 v49, 0
	.loc	1 51 12                         ; addmm_aot.py:51:12
	s_and_saveexec_b64 s[16:17], s[42:43]
	s_cbranch_execz .LBB0_26
; %bb.25:
	global_load_dword v49, v[28:29], off
.LBB0_26:
	.loc	1 0 12 is_stmt 0                ; addmm_aot.py:0:12
	s_or_b64 exec, exec, s[16:17]
	.loc	1 38 40 is_stmt 1               ; addmm_aot.py:38:40
	s_mul_i32 s16, s40, 20
	.loc	1 34 50                         ; addmm_aot.py:34:50
	s_or_b32 s49, s54, 20
	.loc	1 38 40                         ; addmm_aot.py:38:40
	s_add_i32 s16, s57, s16
	.loc	1 52 36                         ; addmm_aot.py:52:36
	s_cmp_lt_i32 s49, s14
	.loc	1 38 52                         ; addmm_aot.py:38:52
	v_add_u32_e32 v30, s16, v34
	.loc	1 52 36                         ; addmm_aot.py:52:36
	s_cselect_b64 s[16:17], -1, 0
	.loc	1 38 22                         ; addmm_aot.py:38:22
	v_ashrrev_i32_e32 v31, 31, v30
	.loc	1 52 61                         ; addmm_aot.py:52:61
	s_and_b64 s[16:17], s[22:23], s[16:17]
	.loc	1 38 22                         ; addmm_aot.py:38:22
	v_lshl_add_u64 v[30:31], v[30:31], 2, s[4:5]
	.loc	1 44 22                         ; addmm_aot.py:44:22
	s_and_b64 s[42:43], s[38:39], s[16:17]
	.loc	1 51 12                         ; addmm_aot.py:51:12
	s_and_saveexec_b64 s[16:17], s[42:43]
	s_cbranch_execz .LBB0_28
; %bb.27:
	global_load_dword v48, v[30:31], off
.LBB0_28:
	.loc	1 0 12 is_stmt 0                ; addmm_aot.py:0:12
	s_or_b64 exec, exec, s[16:17]
	.loc	1 38 40 is_stmt 1               ; addmm_aot.py:38:40
	s_mul_i32 s16, s40, 24
	.loc	1 34 50                         ; addmm_aot.py:34:50
	s_or_b32 s48, s54, 24
	.loc	1 38 40                         ; addmm_aot.py:38:40
	s_add_i32 s16, s57, s16
	.loc	1 52 36                         ; addmm_aot.py:52:36
	s_cmp_lt_i32 s48, s14
	.loc	1 38 52                         ; addmm_aot.py:38:52
	v_add_u32_e32 v32, s16, v34
	.loc	1 52 36                         ; addmm_aot.py:52:36
	s_cselect_b64 s[16:17], -1, 0
	.loc	1 38 22                         ; addmm_aot.py:38:22
	v_ashrrev_i32_e32 v33, 31, v32
	.loc	1 52 61                         ; addmm_aot.py:52:61
	s_and_b64 s[16:17], s[22:23], s[16:17]
	.loc	1 38 22                         ; addmm_aot.py:38:22
	v_lshl_add_u64 v[32:33], v[32:33], 2, s[4:5]
	.loc	1 44 22                         ; addmm_aot.py:44:22
	s_and_b64 s[42:43], s[38:39], s[16:17]
	v_mov_b32_e32 v50, 0
	v_mov_b32_e32 v51, 0
	.loc	1 51 12                         ; addmm_aot.py:51:12
	s_and_saveexec_b64 s[16:17], s[42:43]
	s_cbranch_execz .LBB0_30
; %bb.29:
	global_load_dword v51, v[32:33], off
.LBB0_30:
	.loc	1 0 12 is_stmt 0                ; addmm_aot.py:0:12
	s_or_b64 exec, exec, s[16:17]
	.loc	1 38 40 is_stmt 1               ; addmm_aot.py:38:40
	s_mul_i32 s16, s40, 28
	.loc	1 34 50                         ; addmm_aot.py:34:50
	s_or_b32 s47, s54, 28
	.loc	1 38 40                         ; addmm_aot.py:38:40
	s_add_i32 s16, s57, s16
	.loc	1 52 36                         ; addmm_aot.py:52:36
	s_cmp_lt_i32 s47, s14
	.loc	1 38 52                         ; addmm_aot.py:38:52
	v_add_u32_e32 v34, s16, v34
	.loc	1 52 36                         ; addmm_aot.py:52:36
	s_cselect_b64 s[16:17], -1, 0
	.loc	1 38 22                         ; addmm_aot.py:38:22
	v_ashrrev_i32_e32 v35, 31, v34
	.loc	1 52 61                         ; addmm_aot.py:52:61
	s_and_b64 s[16:17], s[22:23], s[16:17]
	.loc	1 38 22                         ; addmm_aot.py:38:22
	v_lshl_add_u64 v[34:35], v[34:35], 2, s[4:5]
	.loc	1 44 22                         ; addmm_aot.py:44:22
	s_and_b64 s[42:43], s[38:39], s[16:17]
	.loc	1 51 12                         ; addmm_aot.py:51:12
	s_and_saveexec_b64 s[16:17], s[42:43]
	s_cbranch_execz .LBB0_32
; %bb.31:
	global_load_dword v50, v[34:35], off
.LBB0_32:
	.loc	1 0 12 is_stmt 0                ; addmm_aot.py:0:12
	s_or_b64 exec, exec, s[16:17]
	.loc	1 46 12 is_stmt 1               ; addmm_aot.py:46:12
	v_lshlrev_b32_e32 v52, 2, v1
	s_lshr_b32 s16, s55, 4
	v_xor_b32_e32 v53, s16, v52
	v_add_u32_e32 v70, 0, v53
	.loc	1 34 50                         ; addmm_aot.py:34:50
	s_and_b32 s46, s27, 0x80
	v_and_b32_e32 v69, 32, v0
	s_and_b32 s45, s27, 64
	.loc	1 46 12                         ; addmm_aot.py:46:12
	s_waitcnt vmcnt(0)
	ds_write2st64_b32 v70, v37, v39 offset1:8
	ds_write2st64_b32 v70, v41, v43 offset0:16 offset1:24
	v_xor_b32_e32 v37, 16, v53
	.loc	1 34 50                         ; addmm_aot.py:34:50
	v_lshrrev_b32_e32 v67, 3, v69
	.loc	1 46 12                         ; addmm_aot.py:46:12
	v_add_u32_e32 v71, 0, v37
	.loc	1 51 12                         ; addmm_aot.py:51:12
	v_add_u32_e32 v72, 0, v52
	.loc	1 44 22                         ; addmm_aot.py:44:22
	s_cmp_lt_i32 s56, 64
	.loc	1 46 12                         ; addmm_aot.py:46:12
	ds_write2st64_b32 v71, v36, v38 offset0:4 offset1:12
	ds_write2st64_b32 v71, v40, v42 offset0:20 offset1:28
	.loc	1 51 12                         ; addmm_aot.py:51:12
	ds_write2st64_b32 v72, v45, v44 offset0:32 offset1:36
	ds_write2st64_b32 v72, v47, v46 offset0:40 offset1:44
	;; [unrolled: 1-line block ×4, first 2 shown]
	.loc	1 44 22                         ; addmm_aot.py:44:22
	s_cbranch_scc1 .LBB0_100
; %bb.33:                               ; %.lr.ph
	.loc	1 47 65                         ; addmm_aot.py:47:65
	s_sub_i32 s58, s14, 32
	.loc	1 59 33                         ; addmm_aot.py:59:33
	s_lshl_b32 s42, s26, 5
	.loc	1 47 61                         ; addmm_aot.py:47:61
	v_cmp_gt_u32_e64 s[26:27], s58, v66
	s_ashr_i32 s43, s42, 31
	.loc	1 47 43 is_stmt 0               ; addmm_aot.py:47:43
	s_and_b64 s[60:61], vcc, s[26:27]
	v_mov_b32_e32 v50, 0
	v_mov_b32_e32 v51, 0
	.loc	1 46 12 is_stmt 1               ; addmm_aot.py:46:12
	s_and_saveexec_b64 s[16:17], s[60:61]
	s_cbranch_execz .LBB0_35
; %bb.34:
	.loc	1 59 18                         ; addmm_aot.py:59:18
	v_lshl_add_u64 v[2:3], s[42:43], 2, v[2:3]
	.loc	1 46 12                         ; addmm_aot.py:46:12
	global_load_dword v51, v[2:3], off
.LBB0_35:
	.loc	1 0 12 is_stmt 0                ; addmm_aot.py:0:12
	s_or_b64 exec, exec, s[16:17]
	.loc	1 47 43 is_stmt 1               ; addmm_aot.py:47:43
	s_and_b64 s[60:61], s[24:25], s[26:27]
	.loc	1 46 12                         ; addmm_aot.py:46:12
	s_and_saveexec_b64 s[16:17], s[60:61]
	s_cbranch_execz .LBB0_37
; %bb.36:
	.loc	1 59 18                         ; addmm_aot.py:59:18
	v_lshl_add_u64 v[2:3], s[42:43], 2, v[4:5]
	.loc	1 46 12                         ; addmm_aot.py:46:12
	global_load_dword v50, v[2:3], off
.LBB0_37:
	.loc	1 0 12 is_stmt 0                ; addmm_aot.py:0:12
	s_or_b64 exec, exec, s[16:17]
	.loc	1 47 43 is_stmt 1               ; addmm_aot.py:47:43
	s_and_b64 s[60:61], s[28:29], s[26:27]
	v_mov_b32_e32 v52, 0
	v_mov_b32_e32 v53, 0
	.loc	1 46 12                         ; addmm_aot.py:46:12
	s_and_saveexec_b64 s[16:17], s[60:61]
	s_cbranch_execz .LBB0_39
; %bb.38:
	.loc	1 59 18                         ; addmm_aot.py:59:18
	v_lshl_add_u64 v[2:3], s[42:43], 2, v[6:7]
	.loc	1 46 12                         ; addmm_aot.py:46:12
	global_load_dword v53, v[2:3], off
.LBB0_39:
	.loc	1 0 12 is_stmt 0                ; addmm_aot.py:0:12
	s_or_b64 exec, exec, s[16:17]
	.loc	1 47 43 is_stmt 1               ; addmm_aot.py:47:43
	s_and_b64 s[60:61], s[30:31], s[26:27]
	.loc	1 46 12                         ; addmm_aot.py:46:12
	s_and_saveexec_b64 s[16:17], s[60:61]
	s_cbranch_execz .LBB0_41
; %bb.40:
	.loc	1 59 18                         ; addmm_aot.py:59:18
	v_lshl_add_u64 v[2:3], s[42:43], 2, v[8:9]
	.loc	1 46 12                         ; addmm_aot.py:46:12
	global_load_dword v52, v[2:3], off
.LBB0_41:
	.loc	1 0 12 is_stmt 0                ; addmm_aot.py:0:12
	s_or_b64 exec, exec, s[16:17]
	.loc	1 47 43 is_stmt 1               ; addmm_aot.py:47:43
	s_and_b64 s[60:61], s[34:35], s[26:27]
	v_mov_b32_e32 v54, 0
	v_mov_b32_e32 v55, 0
	.loc	1 46 12                         ; addmm_aot.py:46:12
	;; [unrolled: 28-line block ×3, first 2 shown]
	s_and_saveexec_b64 s[16:17], s[60:61]
	s_cbranch_execz .LBB0_47
; %bb.46:
	.loc	1 59 18                         ; addmm_aot.py:59:18
	v_lshl_add_u64 v[2:3], s[42:43], 2, v[16:17]
	.loc	1 46 12                         ; addmm_aot.py:46:12
	global_load_dword v57, v[2:3], off
.LBB0_47:
	.loc	1 0 12 is_stmt 0                ; addmm_aot.py:0:12
	s_or_b64 exec, exec, s[16:17]
	.loc	1 47 43 is_stmt 1               ; addmm_aot.py:47:43
	s_and_b64 s[26:27], s[20:21], s[26:27]
	.loc	1 46 12                         ; addmm_aot.py:46:12
	s_and_saveexec_b64 s[16:17], s[26:27]
	s_cbranch_execz .LBB0_49
; %bb.48:
	.loc	1 59 18                         ; addmm_aot.py:59:18
	v_lshl_add_u64 v[2:3], s[42:43], 2, v[24:25]
	.loc	1 46 12                         ; addmm_aot.py:46:12
	global_load_dword v56, v[2:3], off
.LBB0_49:
	.loc	1 0 12 is_stmt 0                ; addmm_aot.py:0:12
	s_or_b64 exec, exec, s[16:17]
	v_lshlrev_b32_e32 v2, 7, v66
	v_lshlrev_b32_e32 v3, 1, v0
	v_lshl_or_b32 v2, s46, 5, v2
	v_bitop3_b32 v3, v3, v67, 28 bitop3:0x6c
	v_or_b32_e32 v4, v2, v3
	v_bitop3_b32 v5, v2, 8, v3 bitop3:0x36
	v_bitop3_b32 v6, v2, 16, v3 bitop3:0x36
	;; [unrolled: 1-line block ×3, first 2 shown]
	.loc	1 46 12                         ; addmm_aot.py:46:12
	v_add_u32_e32 v73, 0, v4
	v_add_u32_e32 v74, 0, v5
	;; [unrolled: 1-line block ×4, first 2 shown]
	.loc	1 60 33 is_stmt 1               ; addmm_aot.py:60:33
	s_lshl_b32 s16, s40, 5
	.loc	1 46 12                         ; addmm_aot.py:46:12
	s_waitcnt lgkmcnt(0)
	s_barrier
	ds_read2_b32 v[42:43], v73 offset1:8
	ds_read2_b32 v[36:37], v73 offset0:16 offset1:24
	ds_read2_b32 v[44:45], v74 offset1:8
	ds_read2_b32 v[40:41], v74 offset0:16 offset1:24
	;; [unrolled: 2-line block ×4, first 2 shown]
	s_ashr_i32 s17, s16, 31
	.loc	1 52 36                         ; addmm_aot.py:52:36
	s_cmp_lt_u32 s54, s58
	s_cselect_b64 s[26:27], -1, 0
	.loc	1 52 61 is_stmt 0               ; addmm_aot.py:52:61
	s_and_b64 s[60:61], s[22:23], s[26:27]
	v_mov_b32_e32 v58, 0
	v_mov_b32_e32 v59, 0
	.loc	1 51 12 is_stmt 1               ; addmm_aot.py:51:12
	s_and_saveexec_b64 s[26:27], s[60:61]
	s_cbranch_execz .LBB0_51
; %bb.50:
	.loc	1 60 18                         ; addmm_aot.py:60:18
	v_lshl_add_u64 v[2:3], s[16:17], 2, v[12:13]
	.loc	1 51 12                         ; addmm_aot.py:51:12
	global_load_dword v59, v[2:3], off
.LBB0_51:
	.loc	1 0 12 is_stmt 0                ; addmm_aot.py:0:12
	s_or_b64 exec, exec, s[26:27]
	.loc	1 52 36 is_stmt 1               ; addmm_aot.py:52:36
	s_cmp_lt_u32 s53, s58
	s_cselect_b64 s[26:27], -1, 0
	.loc	1 52 61 is_stmt 0               ; addmm_aot.py:52:61
	s_and_b64 s[60:61], s[22:23], s[26:27]
	.loc	1 51 12 is_stmt 1               ; addmm_aot.py:51:12
	s_and_saveexec_b64 s[26:27], s[60:61]
	s_cbranch_execz .LBB0_53
; %bb.52:
	.loc	1 60 18                         ; addmm_aot.py:60:18
	v_lshl_add_u64 v[2:3], s[16:17], 2, v[20:21]
	.loc	1 51 12                         ; addmm_aot.py:51:12
	global_load_dword v58, v[2:3], off
.LBB0_53:
	.loc	1 0 12 is_stmt 0                ; addmm_aot.py:0:12
	s_or_b64 exec, exec, s[26:27]
	.loc	1 52 36 is_stmt 1               ; addmm_aot.py:52:36
	s_cmp_lt_u32 s52, s58
	s_cselect_b64 s[26:27], -1, 0
	.loc	1 52 61 is_stmt 0               ; addmm_aot.py:52:61
	s_and_b64 s[60:61], s[22:23], s[26:27]
	v_mov_b32_e32 v20, 0
	v_mov_b32_e32 v21, 0
	.loc	1 51 12 is_stmt 1               ; addmm_aot.py:51:12
	s_and_saveexec_b64 s[26:27], s[60:61]
	s_cbranch_execz .LBB0_55
; %bb.54:
	.loc	1 60 18                         ; addmm_aot.py:60:18
	v_lshl_add_u64 v[2:3], s[16:17], 2, v[22:23]
	.loc	1 51 12                         ; addmm_aot.py:51:12
	global_load_dword v21, v[2:3], off
.LBB0_55:
	.loc	1 0 12 is_stmt 0                ; addmm_aot.py:0:12
	s_or_b64 exec, exec, s[26:27]
	.loc	1 52 36 is_stmt 1               ; addmm_aot.py:52:36
	s_cmp_lt_u32 s51, s58
	s_cselect_b64 s[26:27], -1, 0
	.loc	1 52 61 is_stmt 0               ; addmm_aot.py:52:61
	s_and_b64 s[60:61], s[22:23], s[26:27]
	.loc	1 51 12 is_stmt 1               ; addmm_aot.py:51:12
	s_and_saveexec_b64 s[26:27], s[60:61]
	s_cbranch_execz .LBB0_57
; %bb.56:
	.loc	1 60 18                         ; addmm_aot.py:60:18
	v_lshl_add_u64 v[2:3], s[16:17], 2, v[26:27]
	.loc	1 51 12                         ; addmm_aot.py:51:12
	global_load_dword v20, v[2:3], off
.LBB0_57:
	.loc	1 0 12 is_stmt 0                ; addmm_aot.py:0:12
	s_or_b64 exec, exec, s[26:27]
	.loc	1 52 36 is_stmt 1               ; addmm_aot.py:52:36
	;; [unrolled: 34-line block ×3, first 2 shown]
	s_cmp_lt_u32 s48, s58
	s_cselect_b64 s[26:27], -1, 0
	.loc	1 52 61 is_stmt 0               ; addmm_aot.py:52:61
	s_and_b64 s[60:61], s[22:23], s[26:27]
	v_mov_b32_e32 v26, 0
	v_mov_b32_e32 v27, 0
	.loc	1 51 12 is_stmt 1               ; addmm_aot.py:51:12
	s_and_saveexec_b64 s[26:27], s[60:61]
	s_cbranch_execz .LBB0_63
; %bb.62:
	.loc	1 60 18                         ; addmm_aot.py:60:18
	v_lshl_add_u64 v[2:3], s[16:17], 2, v[32:33]
	.loc	1 51 12                         ; addmm_aot.py:51:12
	global_load_dword v27, v[2:3], off
.LBB0_63:
	.loc	1 0 12 is_stmt 0                ; addmm_aot.py:0:12
	s_or_b64 exec, exec, s[26:27]
	.loc	1 52 36 is_stmt 1               ; addmm_aot.py:52:36
	s_cmp_lt_u32 s47, s58
	s_cselect_b64 s[26:27], -1, 0
	.loc	1 52 61 is_stmt 0               ; addmm_aot.py:52:61
	s_and_b64 s[58:59], s[22:23], s[26:27]
	.loc	1 51 12 is_stmt 1               ; addmm_aot.py:51:12
	s_and_saveexec_b64 s[26:27], s[58:59]
	s_cbranch_execz .LBB0_65
; %bb.64:
	.loc	1 60 18                         ; addmm_aot.py:60:18
	v_lshl_add_u64 v[2:3], s[16:17], 2, v[34:35]
	.loc	1 51 12                         ; addmm_aot.py:51:12
	global_load_dword v26, v[2:3], off
.LBB0_65:
	.loc	1 0 12 is_stmt 0                ; addmm_aot.py:0:12
	s_or_b64 exec, exec, s[26:27]
	.loc	1 51 12                         ; addmm_aot.py:51:12
	s_lshl1_add_u32 s26, s45, 0
	v_lshlrev_b32_e32 v2, 2, v66
	v_lshl_add_u32 v3, v69, 3, s26
	v_add_u32_e32 v77, v3, v2
	ds_read2st64_b32 v[28:29], v77 offset0:32 offset1:34
.Ltmp4:
	.loc	2 43 30 is_stmt 1               ; standard.py:43:30 @[ addmm_aot.py:44:33 ]
	s_ashr_i32 s26, s56, 31
	s_lshr_b32 s26, s26, 27
	s_add_i32 s56, s56, s26
	s_ashr_i32 s26, s56, 5
.Ltmp5:
	.loc	1 44 22                         ; addmm_aot.py:44:22
	s_max_i32 s56, s26, 2
	s_cmp_eq_u32 s56, 2
	.loc	1 58 33                         ; addmm_aot.py:58:33
	s_waitcnt lgkmcnt(0)
	v_mfma_f32_32x32x2_f32 v[2:17], v28, v42, 0
	v_mfma_f32_32x32x2_f32 v[2:17], v29, v44, v[2:17]
	.loc	1 51 12                         ; addmm_aot.py:51:12
	ds_read2st64_b32 v[28:29], v77 offset0:36 offset1:38
	.loc	1 58 33                         ; addmm_aot.py:58:33
	s_waitcnt lgkmcnt(0)
	v_mfma_f32_32x32x2_f32 v[2:17], v28, v46, v[2:17]
	v_mfma_f32_32x32x2_f32 v[2:17], v29, v48, v[2:17]
	.loc	1 51 12                         ; addmm_aot.py:51:12
	ds_read2st64_b32 v[28:29], v77 offset0:40 offset1:42
	;; [unrolled: 6-line block ×7, first 2 shown]
	.loc	1 46 12                         ; addmm_aot.py:46:12
	s_waitcnt lgkmcnt(0)
	s_barrier
	s_waitcnt vmcnt(0)
	ds_write2st64_b32 v70, v51, v53 offset1:8
	ds_write2st64_b32 v70, v55, v57 offset0:16 offset1:24
	ds_write2st64_b32 v71, v50, v52 offset0:4 offset1:12
	;; [unrolled: 1-line block ×3, first 2 shown]
	.loc	1 51 12                         ; addmm_aot.py:51:12
	ds_write2st64_b32 v72, v59, v58 offset0:32 offset1:36
	ds_write2st64_b32 v72, v21, v20 offset0:40 offset1:44
	;; [unrolled: 1-line block ×4, first 2 shown]
	.loc	1 58 33                         ; addmm_aot.py:58:33
	v_mfma_f32_32x32x2_f32 v[2:17], v28, v39, v[2:17]
	v_mfma_f32_32x32x2_f32 v[2:17], v29, v25, v[2:17]
	.loc	1 44 22                         ; addmm_aot.py:44:22
	s_cbranch_scc1 .LBB0_101
; %bb.66:                               ; %.peel.next
	v_add_u32_e32 v20, s44, v19
	v_mul_lo_u32 v34, s41, v20
	s_mul_i32 s26, s40, s47
	v_add_u32_e32 v20, s26, v34
	s_lshl_b64 s[26:27], s[16:17], 3
	s_add_u32 s4, s4, s26
	s_mul_i32 s26, s40, s48
	v_add_u32_e32 v22, s26, v34
	s_mul_i32 s26, s40, s49
	v_add_u32_e32 v24, s26, v34
	;; [unrolled: 2-line block ×3, first 2 shown]
	v_add_u32_e32 v26, s26, v34
	s_mul_i32 s26, s40, s51
	v_lshrrev_b32_e32 v19, 5, v19
	v_add_u32_e32 v28, s26, v34
	s_mul_i32 s26, s40, s52
	v_add_u32_e32 v19, s33, v19
	v_add_u32_e32 v30, s26, v34
	s_mul_i32 s26, s40, s53
	v_add_u32_e32 v36, 56, v19
	s_addc_u32 s5, s5, s27
	v_add_u32_e32 v32, s26, v34
	v_mad_u64_u32 v[36:37], s[26:27], s15, v36, v[18:19]
	s_lshl_b64 s[16:17], s[16:17], 2
	s_lshl_b64 s[26:27], s[42:43], 3
	s_add_u32 s26, s2, s26
	v_add_u32_e32 v38, 48, v19
	v_add_u32_e32 v40, 40, v19
	v_add_u32_e32 v42, 32, v19
	v_add_u32_e32 v44, 24, v19
	v_add_u32_e32 v46, 16, v19
	v_add_u32_e32 v48, 8, v19
	v_add_u32_e32 v34, s57, v34
	s_addc_u32 s27, s3, s27
	v_mad_u64_u32 v[38:39], s[2:3], s15, v38, v[18:19]
	v_mad_u64_u32 v[40:41], s[2:3], s15, v40, v[18:19]
	;; [unrolled: 1-line block ×7, first 2 shown]
	v_ashrrev_i32_e32 v21, 31, v20
	v_ashrrev_i32_e32 v23, 31, v22
	;; [unrolled: 1-line block ×16, first 2 shown]
	v_lshlrev_b64 v[20:21], 2, v[20:21]
	v_lshlrev_b64 v[22:23], 2, v[22:23]
	;; [unrolled: 1-line block ×9, first 2 shown]
	s_lshl_b64 s[40:41], s[42:43], 2
	v_lshlrev_b64 v[38:39], 2, v[38:39]
	v_lshlrev_b64 v[40:41], 2, v[40:41]
	;; [unrolled: 1-line block ×7, first 2 shown]
	s_add_i32 s42, s56, -2
	s_sub_i32 s43, s14, 64
	s_branch .LBB0_68
.LBB0_67:                               ;   in Loop: Header=BB0_68 Depth=1
	.loc	1 0 22 is_stmt 0                ; addmm_aot.py:0:22
	s_or_b64 exec, exec, s[2:3]
	.loc	1 51 12 is_stmt 1               ; addmm_aot.py:51:12
	ds_read2st64_b32 v[94:95], v77 offset0:32 offset1:34
	.loc	1 44 22                         ; addmm_aot.py:44:22
	s_add_u32 s4, s4, s16
	s_addc_u32 s5, s5, s17
	s_add_u32 s26, s26, s40
	s_addc_u32 s27, s27, s41
	s_add_i32 s42, s42, -1
	s_sub_i32 s43, s43, 32
	s_cmp_lg_u32 s42, 0
	.loc	1 58 33                         ; addmm_aot.py:58:33
	s_waitcnt lgkmcnt(0)
	v_mfma_f32_32x32x2_f32 v[2:17], v94, v62, v[2:17]
	v_mfma_f32_32x32x2_f32 v[2:17], v95, v64, v[2:17]
	.loc	1 51 12                         ; addmm_aot.py:51:12
	ds_read2st64_b32 v[94:95], v77 offset0:36 offset1:38
	.loc	1 58 33                         ; addmm_aot.py:58:33
	s_waitcnt lgkmcnt(0)
	v_mfma_f32_32x32x2_f32 v[2:17], v94, v58, v[2:17]
	v_mfma_f32_32x32x2_f32 v[2:17], v95, v60, v[2:17]
	.loc	1 51 12                         ; addmm_aot.py:51:12
	ds_read2st64_b32 v[94:95], v77 offset0:40 offset1:42
	.loc	1 58 33                         ; addmm_aot.py:58:33
	s_waitcnt lgkmcnt(0)
	v_mfma_f32_32x32x2_f32 v[2:17], v94, v63, v[2:17]
	.loc	1 51 12                         ; addmm_aot.py:51:12
	ds_read2st64_b32 v[62:63], v77 offset0:44 offset1:46
	.loc	1 58 33                         ; addmm_aot.py:58:33
	v_mfma_f32_32x32x2_f32 v[2:17], v95, v65, v[2:17]
	s_waitcnt lgkmcnt(0)
	v_mfma_f32_32x32x2_f32 v[2:17], v62, v59, v[2:17]
	.loc	1 51 12                         ; addmm_aot.py:51:12
	ds_read2st64_b32 v[58:59], v77 offset0:48 offset1:50
	.loc	1 58 33                         ; addmm_aot.py:58:33
	v_mfma_f32_32x32x2_f32 v[2:17], v63, v61, v[2:17]
	s_waitcnt lgkmcnt(0)
	v_mfma_f32_32x32x2_f32 v[2:17], v58, v54, v[2:17]
	v_mfma_f32_32x32x2_f32 v[2:17], v59, v56, v[2:17]
	.loc	1 51 12                         ; addmm_aot.py:51:12
	ds_read2st64_b32 v[58:59], v77 offset0:52 offset1:54
	.loc	1 58 33                         ; addmm_aot.py:58:33
	s_waitcnt lgkmcnt(0)
	v_mfma_f32_32x32x2_f32 v[2:17], v58, v52, v[2:17]
	v_mfma_f32_32x32x2_f32 v[2:17], v59, v50, v[2:17]
	.loc	1 51 12                         ; addmm_aot.py:51:12
	ds_read2st64_b32 v[58:59], v77 offset0:56 offset1:58
	.loc	1 58 33                         ; addmm_aot.py:58:33
	s_waitcnt lgkmcnt(0)
	v_mfma_f32_32x32x2_f32 v[2:17], v58, v55, v[2:17]
	.loc	1 51 12                         ; addmm_aot.py:51:12
	ds_read2st64_b32 v[54:55], v77 offset0:60 offset1:62
	.loc	1 46 12                         ; addmm_aot.py:46:12
	s_waitcnt lgkmcnt(0)
	s_barrier
	s_waitcnt vmcnt(0)
	ds_write2st64_b32 v70, v79, v81 offset1:8
	ds_write2st64_b32 v70, v83, v85 offset0:16 offset1:24
	ds_write2st64_b32 v71, v78, v80 offset0:4 offset1:12
	;; [unrolled: 1-line block ×3, first 2 shown]
	.loc	1 51 12                         ; addmm_aot.py:51:12
	ds_write2st64_b32 v72, v87, v86 offset0:32 offset1:36
	ds_write2st64_b32 v72, v89, v88 offset0:40 offset1:44
	ds_write2st64_b32 v72, v91, v90 offset0:48 offset1:52
	ds_write2st64_b32 v72, v93, v92 offset0:56 offset1:60
	.loc	1 58 33                         ; addmm_aot.py:58:33
	v_mfma_f32_32x32x2_f32 v[2:17], v59, v57, v[2:17]
	v_mfma_f32_32x32x2_f32 v[2:17], v54, v53, v[2:17]
	;; [unrolled: 1-line block ×3, first 2 shown]
	.loc	1 44 22                         ; addmm_aot.py:44:22
	s_cbranch_scc0 .LBB0_101
.LBB0_68:                               ; =>This Inner Loop Header: Depth=1
	.loc	1 47 61                         ; addmm_aot.py:47:61
	v_cmp_gt_i32_e64 s[2:3], s43, v66
	.loc	1 47 43 is_stmt 0               ; addmm_aot.py:47:43
	s_and_b64 s[56:57], vcc, s[2:3]
	v_mov_b32_e32 v78, 0
	v_mov_b32_e32 v79, 0
	.loc	1 46 12 is_stmt 1               ; addmm_aot.py:46:12
	s_and_saveexec_b64 s[14:15], s[56:57]
	s_cbranch_execz .LBB0_70
; %bb.69:                               ;   in Loop: Header=BB0_68 Depth=1
	.loc	1 59 18                         ; addmm_aot.py:59:18
	v_lshl_add_u64 v[50:51], s[26:27], 0, v[18:19]
	.loc	1 46 12                         ; addmm_aot.py:46:12
	global_load_dword v79, v[50:51], off
.LBB0_70:                               ;   in Loop: Header=BB0_68 Depth=1
	.loc	1 0 12 is_stmt 0                ; addmm_aot.py:0:12
	s_or_b64 exec, exec, s[14:15]
	.loc	1 47 43 is_stmt 1               ; addmm_aot.py:47:43
	s_and_b64 s[56:57], s[24:25], s[2:3]
	.loc	1 46 12                         ; addmm_aot.py:46:12
	s_and_saveexec_b64 s[14:15], s[56:57]
	s_cbranch_execz .LBB0_72
; %bb.71:                               ;   in Loop: Header=BB0_68 Depth=1
	.loc	1 59 18                         ; addmm_aot.py:59:18
	v_lshl_add_u64 v[50:51], s[26:27], 0, v[48:49]
	.loc	1 46 12                         ; addmm_aot.py:46:12
	global_load_dword v78, v[50:51], off
.LBB0_72:                               ;   in Loop: Header=BB0_68 Depth=1
	.loc	1 0 12 is_stmt 0                ; addmm_aot.py:0:12
	s_or_b64 exec, exec, s[14:15]
	.loc	1 47 43 is_stmt 1               ; addmm_aot.py:47:43
	s_and_b64 s[56:57], s[28:29], s[2:3]
	v_mov_b32_e32 v80, 0
	v_mov_b32_e32 v81, 0
	.loc	1 46 12                         ; addmm_aot.py:46:12
	s_and_saveexec_b64 s[14:15], s[56:57]
	s_cbranch_execz .LBB0_74
; %bb.73:                               ;   in Loop: Header=BB0_68 Depth=1
	.loc	1 59 18                         ; addmm_aot.py:59:18
	v_lshl_add_u64 v[50:51], s[26:27], 0, v[46:47]
	.loc	1 46 12                         ; addmm_aot.py:46:12
	global_load_dword v81, v[50:51], off
.LBB0_74:                               ;   in Loop: Header=BB0_68 Depth=1
	.loc	1 0 12 is_stmt 0                ; addmm_aot.py:0:12
	s_or_b64 exec, exec, s[14:15]
	.loc	1 47 43 is_stmt 1               ; addmm_aot.py:47:43
	s_and_b64 s[56:57], s[30:31], s[2:3]
	.loc	1 46 12                         ; addmm_aot.py:46:12
	s_and_saveexec_b64 s[14:15], s[56:57]
	s_cbranch_execz .LBB0_76
; %bb.75:                               ;   in Loop: Header=BB0_68 Depth=1
	.loc	1 59 18                         ; addmm_aot.py:59:18
	v_lshl_add_u64 v[50:51], s[26:27], 0, v[44:45]
	.loc	1 46 12                         ; addmm_aot.py:46:12
	global_load_dword v80, v[50:51], off
.LBB0_76:                               ;   in Loop: Header=BB0_68 Depth=1
	.loc	1 0 12 is_stmt 0                ; addmm_aot.py:0:12
	s_or_b64 exec, exec, s[14:15]
	.loc	1 47 43 is_stmt 1               ; addmm_aot.py:47:43
	s_and_b64 s[56:57], s[34:35], s[2:3]
	v_mov_b32_e32 v82, 0
	v_mov_b32_e32 v83, 0
	.loc	1 46 12                         ; addmm_aot.py:46:12
	;; [unrolled: 28-line block ×3, first 2 shown]
	s_and_saveexec_b64 s[14:15], s[56:57]
	s_cbranch_execz .LBB0_82
; %bb.81:                               ;   in Loop: Header=BB0_68 Depth=1
	.loc	1 59 18                         ; addmm_aot.py:59:18
	v_lshl_add_u64 v[50:51], s[26:27], 0, v[38:39]
	.loc	1 46 12                         ; addmm_aot.py:46:12
	global_load_dword v85, v[50:51], off
.LBB0_82:                               ;   in Loop: Header=BB0_68 Depth=1
	.loc	1 0 12 is_stmt 0                ; addmm_aot.py:0:12
	s_or_b64 exec, exec, s[14:15]
	.loc	1 47 43 is_stmt 1               ; addmm_aot.py:47:43
	s_and_b64 s[14:15], s[20:21], s[2:3]
	.loc	1 46 12                         ; addmm_aot.py:46:12
	s_and_saveexec_b64 s[2:3], s[14:15]
	s_cbranch_execz .LBB0_84
; %bb.83:                               ;   in Loop: Header=BB0_68 Depth=1
	.loc	1 60 18                         ; addmm_aot.py:60:18
	v_lshl_add_u64 v[50:51], s[26:27], 0, v[36:37]
	.loc	1 46 12                         ; addmm_aot.py:46:12
	global_load_dword v84, v[50:51], off
.LBB0_84:                               ;   in Loop: Header=BB0_68 Depth=1
	.loc	1 0 12 is_stmt 0                ; addmm_aot.py:0:12
	s_or_b64 exec, exec, s[2:3]
	.loc	1 46 12                         ; addmm_aot.py:46:12
	s_waitcnt lgkmcnt(0)
	s_barrier
	ds_read2_b32 v[62:63], v73 offset1:8
	ds_read2_b32 v[54:55], v73 offset0:16 offset1:24
	ds_read2_b32 v[64:65], v74 offset1:8
	ds_read2_b32 v[56:57], v74 offset0:16 offset1:24
	;; [unrolled: 2-line block ×4, first 2 shown]
	.loc	1 52 36 is_stmt 1               ; addmm_aot.py:52:36
	s_cmp_lt_i32 s54, s43
	s_cselect_b64 s[2:3], -1, 0
	.loc	1 52 61 is_stmt 0               ; addmm_aot.py:52:61
	s_and_b64 s[14:15], s[22:23], s[2:3]
	v_mov_b32_e32 v86, 0
	v_mov_b32_e32 v87, 0
	.loc	1 51 12 is_stmt 1               ; addmm_aot.py:51:12
	s_and_saveexec_b64 s[2:3], s[14:15]
	s_cbranch_execz .LBB0_86
; %bb.85:                               ;   in Loop: Header=BB0_68 Depth=1
	.loc	1 60 18                         ; addmm_aot.py:60:18
	v_lshl_add_u64 v[88:89], s[4:5], 0, v[34:35]
	.loc	1 51 12                         ; addmm_aot.py:51:12
	global_load_dword v87, v[88:89], off
.LBB0_86:                               ;   in Loop: Header=BB0_68 Depth=1
	.loc	1 0 12 is_stmt 0                ; addmm_aot.py:0:12
	s_or_b64 exec, exec, s[2:3]
	.loc	1 52 36 is_stmt 1               ; addmm_aot.py:52:36
	s_cmp_lt_i32 s53, s43
	s_cselect_b64 s[2:3], -1, 0
	.loc	1 52 61 is_stmt 0               ; addmm_aot.py:52:61
	s_and_b64 s[14:15], s[22:23], s[2:3]
	.loc	1 51 12 is_stmt 1               ; addmm_aot.py:51:12
	s_and_saveexec_b64 s[2:3], s[14:15]
	s_cbranch_execz .LBB0_88
; %bb.87:                               ;   in Loop: Header=BB0_68 Depth=1
	.loc	1 60 18                         ; addmm_aot.py:60:18
	v_lshl_add_u64 v[88:89], s[4:5], 0, v[32:33]
	.loc	1 51 12                         ; addmm_aot.py:51:12
	global_load_dword v86, v[88:89], off
.LBB0_88:                               ;   in Loop: Header=BB0_68 Depth=1
	.loc	1 0 12 is_stmt 0                ; addmm_aot.py:0:12
	s_or_b64 exec, exec, s[2:3]
	.loc	1 52 36 is_stmt 1               ; addmm_aot.py:52:36
	s_cmp_lt_i32 s52, s43
	s_cselect_b64 s[2:3], -1, 0
	.loc	1 52 61 is_stmt 0               ; addmm_aot.py:52:61
	s_and_b64 s[14:15], s[22:23], s[2:3]
	v_mov_b32_e32 v88, 0
	v_mov_b32_e32 v89, 0
	.loc	1 51 12 is_stmt 1               ; addmm_aot.py:51:12
	s_and_saveexec_b64 s[2:3], s[14:15]
	s_cbranch_execz .LBB0_90
; %bb.89:                               ;   in Loop: Header=BB0_68 Depth=1
	.loc	1 60 18                         ; addmm_aot.py:60:18
	v_lshl_add_u64 v[90:91], s[4:5], 0, v[30:31]
	.loc	1 51 12                         ; addmm_aot.py:51:12
	global_load_dword v89, v[90:91], off
.LBB0_90:                               ;   in Loop: Header=BB0_68 Depth=1
	.loc	1 0 12 is_stmt 0                ; addmm_aot.py:0:12
	s_or_b64 exec, exec, s[2:3]
	.loc	1 52 36 is_stmt 1               ; addmm_aot.py:52:36
	s_cmp_lt_i32 s51, s43
	s_cselect_b64 s[2:3], -1, 0
	.loc	1 52 61 is_stmt 0               ; addmm_aot.py:52:61
	s_and_b64 s[14:15], s[22:23], s[2:3]
	.loc	1 51 12 is_stmt 1               ; addmm_aot.py:51:12
	s_and_saveexec_b64 s[2:3], s[14:15]
	s_cbranch_execz .LBB0_92
; %bb.91:                               ;   in Loop: Header=BB0_68 Depth=1
	.loc	1 60 18                         ; addmm_aot.py:60:18
	v_lshl_add_u64 v[90:91], s[4:5], 0, v[28:29]
	.loc	1 51 12                         ; addmm_aot.py:51:12
	global_load_dword v88, v[90:91], off
.LBB0_92:                               ;   in Loop: Header=BB0_68 Depth=1
	.loc	1 0 12 is_stmt 0                ; addmm_aot.py:0:12
	s_or_b64 exec, exec, s[2:3]
	;; [unrolled: 34-line block ×3, first 2 shown]
	.loc	1 52 36 is_stmt 1               ; addmm_aot.py:52:36
	s_cmp_lt_i32 s48, s43
	s_cselect_b64 s[2:3], -1, 0
	.loc	1 52 61 is_stmt 0               ; addmm_aot.py:52:61
	s_and_b64 s[14:15], s[22:23], s[2:3]
	v_mov_b32_e32 v92, 0
	v_mov_b32_e32 v93, 0
	.loc	1 51 12 is_stmt 1               ; addmm_aot.py:51:12
	s_and_saveexec_b64 s[2:3], s[14:15]
	s_cbranch_execz .LBB0_98
; %bb.97:                               ;   in Loop: Header=BB0_68 Depth=1
	.loc	1 60 18                         ; addmm_aot.py:60:18
	v_lshl_add_u64 v[94:95], s[4:5], 0, v[22:23]
	.loc	1 51 12                         ; addmm_aot.py:51:12
	global_load_dword v93, v[94:95], off
.LBB0_98:                               ;   in Loop: Header=BB0_68 Depth=1
	.loc	1 0 12 is_stmt 0                ; addmm_aot.py:0:12
	s_or_b64 exec, exec, s[2:3]
	.loc	1 52 36 is_stmt 1               ; addmm_aot.py:52:36
	s_cmp_lt_i32 s47, s43
	s_cselect_b64 s[2:3], -1, 0
	.loc	1 52 61 is_stmt 0               ; addmm_aot.py:52:61
	s_and_b64 s[14:15], s[22:23], s[2:3]
	.loc	1 51 12 is_stmt 1               ; addmm_aot.py:51:12
	s_and_saveexec_b64 s[2:3], s[14:15]
	s_cbranch_execz .LBB0_67
; %bb.99:                               ;   in Loop: Header=BB0_68 Depth=1
	.loc	1 44 22                         ; addmm_aot.py:44:22
	v_lshl_add_u64 v[94:95], s[4:5], 0, v[20:21]
	.loc	1 51 12                         ; addmm_aot.py:51:12
	global_load_dword v92, v[94:95], off
	s_branch .LBB0_67
.LBB0_100:
	.loc	1 0 12 is_stmt 0                ; addmm_aot.py:0:12
	v_mov_b32_e32 v17, 0
	v_mov_b32_e32 v16, v17
	;; [unrolled: 1-line block ×16, first 2 shown]
.LBB0_101:                              ; %Flow190
	s_load_dwordx4 s[16:19], s[0:1], 0x44
	.loc	1 46 12 is_stmt 1               ; addmm_aot.py:46:12
	v_and_b32_e32 v20, 14, v0
	.loc	1 58 33                         ; addmm_aot.py:58:33
	s_andn2_b64 vcc, exec, s[38:39]
	.loc	1 46 12                         ; addmm_aot.py:46:12
	v_lshlrev_b32_e32 v21, 1, v20
	s_waitcnt lgkmcnt(0)
	s_barrier
	s_cbranch_vccnz .LBB0_103
; %bb.102:
	.loc	1 51 12                         ; addmm_aot.py:51:12
	s_lshl1_add_u32 s0, s45, 0
	v_lshl_add_u32 v18, v69, 3, s0
	v_lshl_add_u32 v30, v66, 2, v18
	ds_read2st64_b32 v[18:19], v30 offset0:32 offset1:34
	.loc	1 46 12                         ; addmm_aot.py:46:12
	v_lshlrev_b32_e32 v22, 7, v66
	s_lshl_b32 s0, s46, 5
	v_xor_b32_e32 v23, v21, v67
	v_or3_b32 v28, s0, v22, v23
	v_add_u32_e32 v31, 0, v28
	ds_read2_b32 v[22:23], v31 offset1:8
	v_xad_u32 v32, v28, 8, 0
	ds_read2_b32 v[24:25], v32 offset1:8
	.loc	1 58 33                         ; addmm_aot.py:58:33
	s_waitcnt lgkmcnt(1)
	v_mfma_f32_32x32x2_f32 v[2:17], v18, v22, v[2:17]
	.loc	1 46 12                         ; addmm_aot.py:46:12
	v_xad_u32 v33, v28, 16, 0
	ds_read2_b32 v[26:27], v33 offset1:8
	v_xad_u32 v34, v28, 24, 0
	ds_read2_b32 v[28:29], v34 offset1:8
	.loc	1 58 33                         ; addmm_aot.py:58:33
	s_waitcnt lgkmcnt(2)
	v_mfma_f32_32x32x2_f32 v[2:17], v19, v24, v[2:17]
	.loc	1 51 12                         ; addmm_aot.py:51:12
	ds_read2st64_b32 v[18:19], v30 offset0:36 offset1:38
	.loc	1 58 33                         ; addmm_aot.py:58:33
	s_waitcnt lgkmcnt(0)
	v_mfma_f32_32x32x2_f32 v[2:17], v18, v26, v[2:17]
	v_mfma_f32_32x32x2_f32 v[2:17], v19, v28, v[2:17]
	.loc	1 51 12                         ; addmm_aot.py:51:12
	ds_read2st64_b32 v[18:19], v30 offset0:40 offset1:42
	.loc	1 58 33                         ; addmm_aot.py:58:33
	s_waitcnt lgkmcnt(0)
	v_mfma_f32_32x32x2_f32 v[2:17], v18, v23, v[2:17]
	v_mfma_f32_32x32x2_f32 v[2:17], v19, v25, v[2:17]
	.loc	1 51 12                         ; addmm_aot.py:51:12
	ds_read2st64_b32 v[18:19], v30 offset0:44 offset1:46
	.loc	1 46 12                         ; addmm_aot.py:46:12
	ds_read2_b32 v[24:25], v32 offset0:16 offset1:24
	.loc	1 58 33                         ; addmm_aot.py:58:33
	s_waitcnt lgkmcnt(1)
	v_mfma_f32_32x32x2_f32 v[2:17], v18, v27, v[2:17]
	v_mfma_f32_32x32x2_f32 v[2:17], v19, v29, v[2:17]
	.loc	1 51 12                         ; addmm_aot.py:51:12
	ds_read2st64_b32 v[18:19], v30 offset0:48 offset1:50
	.loc	1 46 12                         ; addmm_aot.py:46:12
	ds_read2_b32 v[22:23], v31 offset0:16 offset1:24
	ds_read2_b32 v[28:29], v34 offset0:16 offset1:24
	.loc	1 58 33                         ; addmm_aot.py:58:33
	s_waitcnt lgkmcnt(1)
	v_mfma_f32_32x32x2_f32 v[2:17], v18, v22, v[2:17]
	v_mfma_f32_32x32x2_f32 v[2:17], v19, v24, v[2:17]
	.loc	1 51 12                         ; addmm_aot.py:51:12
	ds_read2st64_b32 v[18:19], v30 offset0:52 offset1:54
	.loc	1 46 12                         ; addmm_aot.py:46:12
	ds_read2_b32 v[26:27], v33 offset0:16 offset1:24
	.loc	1 58 33                         ; addmm_aot.py:58:33
	s_waitcnt lgkmcnt(0)
	v_mfma_f32_32x32x2_f32 v[2:17], v18, v26, v[2:17]
	v_mfma_f32_32x32x2_f32 v[2:17], v19, v28, v[2:17]
	.loc	1 51 12                         ; addmm_aot.py:51:12
	ds_read2st64_b32 v[18:19], v30 offset0:56 offset1:58
	.loc	1 58 33                         ; addmm_aot.py:58:33
	s_waitcnt lgkmcnt(0)
	v_mfma_f32_32x32x2_f32 v[2:17], v18, v23, v[2:17]
	v_mfma_f32_32x32x2_f32 v[2:17], v19, v25, v[2:17]
	.loc	1 51 12                         ; addmm_aot.py:51:12
	ds_read2st64_b32 v[18:19], v30 offset0:60 offset1:62
	.loc	1 58 33                         ; addmm_aot.py:58:33
	s_waitcnt lgkmcnt(0)
	v_mfma_f32_32x32x2_f32 v[2:17], v18, v27, v[2:17]
	v_mfma_f32_32x32x2_f32 v[2:17], v19, v29, v[2:17]
.LBB0_103:                              ; %._crit_edge._crit_edge
	.loc	1 34 37                         ; addmm_aot.py:34:37
	s_or_b32 s2, s54, s33
	.loc	1 65 33                         ; addmm_aot.py:65:33
	s_cmp_lt_i32 s2, s12
	s_cselect_b64 s[0:1], -1, 0
	.loc	1 66 64                         ; addmm_aot.py:66:64
	v_mul_lo_u32 v18, s17, v68
	.loc	1 67 19                         ; addmm_aot.py:67:19
	v_mov_b32_e32 v22, 0
	.loc	1 65 39                         ; addmm_aot.py:65:39
	s_and_b64 s[4:5], s[22:23], s[0:1]
	.loc	1 66 52                         ; addmm_aot.py:66:52
	v_ashrrev_i32_e32 v19, 31, v18
	v_mov_b32_e32 v23, v22
	.loc	1 67 19                         ; addmm_aot.py:67:19
	s_and_saveexec_b64 s[0:1], s[4:5]
	s_cbranch_execz .LBB0_105
; %bb.104:
	.loc	1 0 19 is_stmt 0                ; addmm_aot.py:0:19
	s_mul_i32 s4, s2, s16
	s_ashr_i32 s5, s4, 31
	s_lshl_b64 s[4:5], s[4:5], 2
	s_add_u32 s4, s6, s4
	s_addc_u32 s5, s7, s5
	v_lshl_add_u64 v[24:25], v[18:19], 2, s[4:5]
	.loc	1 67 19                         ; addmm_aot.py:67:19
	global_load_dword v23, v[24:25], off
.LBB0_105:
	.loc	1 0 19                          ; addmm_aot.py:0:19
	s_or_b64 exec, exec, s[0:1]
	.loc	1 34 37 is_stmt 1               ; addmm_aot.py:34:37
	s_or_b32 s3, s53, s33
	.loc	1 65 33                         ; addmm_aot.py:65:33
	s_cmp_lt_i32 s3, s12
	s_cselect_b64 s[0:1], -1, 0
	.loc	1 65 39 is_stmt 0               ; addmm_aot.py:65:39
	s_and_b64 s[4:5], s[22:23], s[0:1]
	.loc	1 67 19 is_stmt 1               ; addmm_aot.py:67:19
	s_and_saveexec_b64 s[0:1], s[4:5]
	s_cbranch_execz .LBB0_107
; %bb.106:
	.loc	1 66 33                         ; addmm_aot.py:66:33
	s_mul_i32 s4, s3, s16
	.loc	1 66 21 is_stmt 0               ; addmm_aot.py:66:21
	s_ashr_i32 s5, s4, 31
	s_lshl_b64 s[4:5], s[4:5], 2
	s_add_u32 s4, s6, s4
	s_addc_u32 s5, s7, s5
	.loc	1 66 52                         ; addmm_aot.py:66:52
	v_lshl_add_u64 v[24:25], v[18:19], 2, s[4:5]
	.loc	1 67 19 is_stmt 1               ; addmm_aot.py:67:19
	global_load_dword v22, v[24:25], off
.LBB0_107:
	.loc	1 0 19 is_stmt 0                ; addmm_aot.py:0:19
	s_or_b64 exec, exec, s[0:1]
	.loc	1 34 37 is_stmt 1               ; addmm_aot.py:34:37
	s_or_b32 s3, s52, s33
	.loc	1 65 33                         ; addmm_aot.py:65:33
	s_cmp_lt_i32 s3, s12
	s_cselect_b64 s[0:1], -1, 0
	.loc	1 67 19                         ; addmm_aot.py:67:19
	v_mov_b32_e32 v24, 0
	.loc	1 65 39                         ; addmm_aot.py:65:39
	s_and_b64 s[4:5], s[22:23], s[0:1]
	v_mov_b32_e32 v25, v24
	.loc	1 67 19                         ; addmm_aot.py:67:19
	s_and_saveexec_b64 s[0:1], s[4:5]
	s_cbranch_execz .LBB0_109
; %bb.108:
	.loc	1 66 33                         ; addmm_aot.py:66:33
	s_mul_i32 s4, s3, s16
	.loc	1 66 21 is_stmt 0               ; addmm_aot.py:66:21
	s_ashr_i32 s5, s4, 31
	s_lshl_b64 s[4:5], s[4:5], 2
	s_add_u32 s4, s6, s4
	s_addc_u32 s5, s7, s5
	.loc	1 66 52                         ; addmm_aot.py:66:52
	v_lshl_add_u64 v[26:27], v[18:19], 2, s[4:5]
	.loc	1 67 19 is_stmt 1               ; addmm_aot.py:67:19
	global_load_dword v25, v[26:27], off
.LBB0_109:
	.loc	1 0 19 is_stmt 0                ; addmm_aot.py:0:19
	s_or_b64 exec, exec, s[0:1]
	.loc	1 34 37 is_stmt 1               ; addmm_aot.py:34:37
	s_or_b32 s3, s51, s33
	.loc	1 65 33                         ; addmm_aot.py:65:33
	s_cmp_lt_i32 s3, s12
	s_cselect_b64 s[0:1], -1, 0
	.loc	1 65 39 is_stmt 0               ; addmm_aot.py:65:39
	s_and_b64 s[4:5], s[22:23], s[0:1]
	.loc	1 67 19 is_stmt 1               ; addmm_aot.py:67:19
	s_and_saveexec_b64 s[0:1], s[4:5]
	s_cbranch_execz .LBB0_111
; %bb.110:
	.loc	1 66 33                         ; addmm_aot.py:66:33
	s_mul_i32 s4, s3, s16
	.loc	1 66 21 is_stmt 0               ; addmm_aot.py:66:21
	s_ashr_i32 s5, s4, 31
	s_lshl_b64 s[4:5], s[4:5], 2
	s_add_u32 s4, s6, s4
	s_addc_u32 s5, s7, s5
	.loc	1 66 52                         ; addmm_aot.py:66:52
	v_lshl_add_u64 v[26:27], v[18:19], 2, s[4:5]
	.loc	1 67 19 is_stmt 1               ; addmm_aot.py:67:19
	global_load_dword v24, v[26:27], off
.LBB0_111:
	.loc	1 0 19 is_stmt 0                ; addmm_aot.py:0:19
	s_or_b64 exec, exec, s[0:1]
	.loc	1 34 37 is_stmt 1               ; addmm_aot.py:34:37
	s_or_b32 s3, s50, s33
	.loc	1 65 33                         ; addmm_aot.py:65:33
	s_cmp_lt_i32 s3, s12
	s_cselect_b64 s[0:1], -1, 0
	.loc	1 67 19                         ; addmm_aot.py:67:19
	v_mov_b32_e32 v26, 0
	.loc	1 65 39                         ; addmm_aot.py:65:39
	s_and_b64 s[4:5], s[22:23], s[0:1]
	v_mov_b32_e32 v27, v26
	.loc	1 67 19                         ; addmm_aot.py:67:19
	s_and_saveexec_b64 s[0:1], s[4:5]
	s_cbranch_execz .LBB0_113
; %bb.112:
	.loc	1 66 33                         ; addmm_aot.py:66:33
	s_mul_i32 s4, s3, s16
	.loc	1 66 21 is_stmt 0               ; addmm_aot.py:66:21
	s_ashr_i32 s5, s4, 31
	s_lshl_b64 s[4:5], s[4:5], 2
	s_add_u32 s4, s6, s4
	s_addc_u32 s5, s7, s5
	.loc	1 66 52                         ; addmm_aot.py:66:52
	v_lshl_add_u64 v[28:29], v[18:19], 2, s[4:5]
	.loc	1 67 19 is_stmt 1               ; addmm_aot.py:67:19
	global_load_dword v27, v[28:29], off
.LBB0_113:
	.loc	1 0 19 is_stmt 0                ; addmm_aot.py:0:19
	;; [unrolled: 53-line block ×7, first 2 shown]
	s_or_b64 exec, exec, s[0:1]
	.loc	1 34 37 is_stmt 1               ; addmm_aot.py:34:37
	s_or_b32 s2, s2, 60
	.loc	1 65 33                         ; addmm_aot.py:65:33
	s_cmp_lt_i32 s2, s12
	s_cselect_b64 s[0:1], -1, 0
	.loc	1 65 39 is_stmt 0               ; addmm_aot.py:65:39
	s_and_b64 s[4:5], s[22:23], s[0:1]
	.loc	1 67 19 is_stmt 1               ; addmm_aot.py:67:19
	s_and_saveexec_b64 s[0:1], s[4:5]
	s_cbranch_execz .LBB0_135
; %bb.134:
	.loc	1 66 33                         ; addmm_aot.py:66:33
	s_mul_i32 s2, s2, s16
	.loc	1 66 21 is_stmt 0               ; addmm_aot.py:66:21
	s_ashr_i32 s3, s2, 31
	s_lshl_b64 s[2:3], s[2:3], 2
	s_add_u32 s2, s6, s2
	s_addc_u32 s3, s7, s3
	.loc	1 66 52                         ; addmm_aot.py:66:52
	v_lshl_add_u64 v[18:19], v[18:19], 2, s[2:3]
	.loc	1 67 19 is_stmt 1               ; addmm_aot.py:67:19
	global_load_dword v37, v[18:19], off
.LBB0_135:
	.loc	1 0 19 is_stmt 0                ; addmm_aot.py:0:19
	s_or_b64 exec, exec, s[0:1]
	.loc	1 34 50 is_stmt 1               ; addmm_aot.py:34:50
	s_lshr_b32 s0, s46, 2
	s_lshr_b32 s1, s45, 1
	v_or_b32_e32 v18, s1, v67
	.loc	1 34 37 is_stmt 0               ; addmm_aot.py:34:37
	v_or_b32_e32 v19, s0, v66
	v_or_b32_e32 v19, s33, v19
	.loc	1 35 37 is_stmt 1               ; addmm_aot.py:35:37
	v_or_b32_e32 v32, s44, v18
	.loc	1 65 33                         ; addmm_aot.py:65:33
	v_cmp_gt_i32_e32 vcc, s12, v19
	.loc	1 65 58 is_stmt 0               ; addmm_aot.py:65:58
	v_cmp_gt_i32_e64 s[0:1], s13, v32
	.loc	1 65 39                         ; addmm_aot.py:65:39
	s_and_b64 s[2:3], vcc, s[0:1]
	.loc	1 69 47 is_stmt 1               ; addmm_aot.py:69:47
	v_lshlrev_b32_e32 v41, 3, v0
	.loc	1 34 50                         ; addmm_aot.py:34:50
	s_cmp_eq_u32 s46, 0
	.loc	1 69 47                         ; addmm_aot.py:69:47
	s_waitcnt vmcnt(0)
	v_mul_f32_e32 v18, s11, v23
	v_mul_f32_e32 v23, s11, v25
	;; [unrolled: 1-line block ×8, first 2 shown]
	v_lshlrev_b32_e32 v38, 1, v0
	v_and_b32_e32 v40, 1, v0
	v_and_b32_e32 v41, 32, v41
	;; [unrolled: 1-line block ×4, first 2 shown]
	s_cselect_b32 s0, 0, 0x104
	v_lshl_or_b32 v41, v40, 12, v41
	v_lshl_or_b32 v41, s45, 7, v41
	v_bitop3_b32 v38, s0, v38, v39 bitop3:0x1e
	v_or_b32_e32 v39, v38, v41
	v_add_u32_e32 v42, 0, v39
	v_mul_f32_e32 v22, s11, v22
	v_mul_f32_e32 v30, s11, v30
	s_waitcnt lgkmcnt(0)
	s_barrier
	ds_write2_b32 v42, v18, v29 offset1:32
	v_xad_u32 v18, v39, 8, 0
	ds_write2_b32 v18, v22, v30 offset0:128 offset1:160
	v_xad_u32 v18, v39, 16, 0
	v_add_u32_e32 v18, 0x400, v18
	ds_write2_b32 v18, v23, v31 offset1:32
	v_xad_u32 v18, v39, 24, 0
	v_mul_f32_e32 v24, s11, v24
	v_mul_f32_e32 v33, s11, v33
	v_add_u32_e32 v18, 0x400, v18
	ds_write2_b32 v18, v24, v33 offset0:128 offset1:160
	v_xad_u32 v18, v39, 64, 0
	v_add_u32_e32 v18, 0x800, v18
	s_movk_i32 s0, 0x48
	ds_write2_b32 v18, v25, v34 offset1:32
	v_bitop3_b32 v18, v38, s0, v41 bitop3:0x36
	v_add_u32_e32 v18, 0, v18
	v_mul_f32_e32 v26, s11, v26
	v_mul_f32_e32 v35, s11, v35
	v_add_u32_e32 v18, 0x800, v18
	s_movk_i32 s0, 0x50
	ds_write2_b32 v18, v26, v35 offset0:128 offset1:160
	v_bitop3_b32 v18, v38, s0, v41 bitop3:0x36
	v_add_u32_e32 v18, 0, v18
	v_add_u32_e32 v18, 0xc00, v18
	s_movk_i32 s0, 0x58
	ds_write2_b32 v18, v27, v36 offset1:32
	v_bitop3_b32 v18, v38, s0, v41 bitop3:0x36
	v_add_u32_e32 v18, 0, v18
	v_mul_f32_e32 v28, s11, v28
	v_mul_f32_e32 v37, s11, v37
	v_add_u32_e32 v18, 0xc00, v18
	v_bfe_i32 v0, v0, 4, 1
	.loc	1 34 50                         ; addmm_aot.py:34:50
	v_and_b32_e32 v1, 0xe0, v1
	.loc	1 69 47                         ; addmm_aot.py:69:47
	ds_write2_b32 v18, v28, v37 offset0:128 offset1:160
	v_lshlrev_b32_e32 v18, 7, v20
	v_and_b32_e32 v0, 0x840, v0
	v_lshlrev_b32_e32 v20, 13, v40
	v_bitop3_b32 v0, v1, v18, v0 bitop3:0xde
	v_or3_b32 v0, v0, v20, v21
	v_xad_u32 v1, v0, 4, 0
	s_waitcnt lgkmcnt(0)
	s_barrier
	ds_read2st64_b32 v[30:31], v1 offset1:16
	v_xad_u32 v1, v0, 8, 0
	ds_read2st64_b32 v[28:29], v1 offset1:16
	v_xad_u32 v1, v0, 12, 0
	;; [unrolled: 2-line block ×4, first 2 shown]
	v_add_u32_e32 v34, 0, v0
	ds_read2st64_b32 v[22:23], v1 offset1:16
	v_xad_u32 v1, v0, 24, 0
	v_xad_u32 v0, v0, 28, 0
	ds_read_b32 v33, v34 offset:4096
	ds_read2st64_b32 v[20:21], v1 offset1:16
	ds_read2st64_b32 v[0:1], v0 offset1:16
	.loc	1 64 33                         ; addmm_aot.py:64:33
	v_mul_lo_u32 v18, v19, s18
	.loc	1 64 21 is_stmt 0               ; addmm_aot.py:64:21
	v_ashrrev_i32_e32 v19, 31, v18
	v_lshl_add_u64 v[18:19], v[18:19], 2, s[8:9]
	.loc	1 71 21 is_stmt 1               ; addmm_aot.py:71:21
	s_and_saveexec_b64 s[0:1], s[2:3]
	s_cbranch_execz .LBB0_137
; %bb.136:
	.loc	1 69 47                         ; addmm_aot.py:69:47
	ds_read_b32 v36, v34
	.loc	1 64 64                         ; addmm_aot.py:64:64
	v_mul_lo_u32 v34, v32, s19
	.loc	1 64 52 is_stmt 0               ; addmm_aot.py:64:52
	v_ashrrev_i32_e32 v35, 31, v34
	v_lshl_add_u64 v[34:35], v[34:35], 2, v[18:19]
	.loc	1 69 40 is_stmt 1               ; addmm_aot.py:69:40
	s_waitcnt lgkmcnt(0)
	v_fmac_f32_e32 v36, s10, v2
	.loc	1 71 21                         ; addmm_aot.py:71:21
	global_store_dword v[34:35], v36, off
.LBB0_137:
	.loc	1 0 21 is_stmt 0                ; addmm_aot.py:0:21
	s_or_b64 exec, exec, s[0:1]
	.loc	1 35 37 is_stmt 1               ; addmm_aot.py:35:37
	v_or_b32_e32 v2, 1, v32
	.loc	1 65 58                         ; addmm_aot.py:65:58
	v_cmp_gt_i32_e64 s[0:1], s13, v2
	.loc	1 65 39 is_stmt 0               ; addmm_aot.py:65:39
	s_and_b64 s[2:3], vcc, s[0:1]
	.loc	1 71 21 is_stmt 1               ; addmm_aot.py:71:21
	s_and_saveexec_b64 s[0:1], s[2:3]
	s_cbranch_execz .LBB0_139
; %bb.138:
	.loc	1 64 64                         ; addmm_aot.py:64:64
	v_mul_lo_u32 v2, v2, s19
	.loc	1 69 40                         ; addmm_aot.py:69:40
	s_waitcnt lgkmcnt(2)
	v_fmac_f32_e32 v33, s10, v3
	.loc	1 64 52                         ; addmm_aot.py:64:52
	v_ashrrev_i32_e32 v3, 31, v2
	v_lshl_add_u64 v[2:3], v[2:3], 2, v[18:19]
	.loc	1 71 21                         ; addmm_aot.py:71:21
	global_store_dword v[2:3], v33, off
.LBB0_139:
	.loc	1 0 21 is_stmt 0                ; addmm_aot.py:0:21
	s_or_b64 exec, exec, s[0:1]
	.loc	1 35 37 is_stmt 1               ; addmm_aot.py:35:37
	v_or_b32_e32 v2, 2, v32
	.loc	1 65 58                         ; addmm_aot.py:65:58
	v_cmp_gt_i32_e64 s[0:1], s13, v2
	.loc	1 65 39 is_stmt 0               ; addmm_aot.py:65:39
	s_and_b64 s[2:3], vcc, s[0:1]
	.loc	1 71 21 is_stmt 1               ; addmm_aot.py:71:21
	s_and_saveexec_b64 s[0:1], s[2:3]
	s_cbranch_execz .LBB0_141
; %bb.140:
	.loc	1 64 64                         ; addmm_aot.py:64:64
	v_mul_lo_u32 v2, v2, s19
	.loc	1 64 52 is_stmt 0               ; addmm_aot.py:64:52
	v_ashrrev_i32_e32 v3, 31, v2
	.loc	1 69 40 is_stmt 1               ; addmm_aot.py:69:40
	s_waitcnt lgkmcnt(7)
	v_fma_f32 v4, s10, v4, v30
	.loc	1 64 52                         ; addmm_aot.py:64:52
	v_lshl_add_u64 v[2:3], v[2:3], 2, v[18:19]
	.loc	1 71 21                         ; addmm_aot.py:71:21
	global_store_dword v[2:3], v4, off
.LBB0_141:
	.loc	1 0 21 is_stmt 0                ; addmm_aot.py:0:21
	s_or_b64 exec, exec, s[0:1]
	.loc	1 35 37 is_stmt 1               ; addmm_aot.py:35:37
	v_or_b32_e32 v2, 3, v32
	.loc	1 65 58                         ; addmm_aot.py:65:58
	v_cmp_gt_i32_e64 s[0:1], s13, v2
	.loc	1 65 39 is_stmt 0               ; addmm_aot.py:65:39
	s_and_b64 s[2:3], vcc, s[0:1]
	.loc	1 71 21 is_stmt 1               ; addmm_aot.py:71:21
	s_and_saveexec_b64 s[0:1], s[2:3]
	s_cbranch_execz .LBB0_143
; %bb.142:
	.loc	1 64 64                         ; addmm_aot.py:64:64
	v_mul_lo_u32 v2, v2, s19
	.loc	1 64 52 is_stmt 0               ; addmm_aot.py:64:52
	v_ashrrev_i32_e32 v3, 31, v2
	.loc	1 69 40 is_stmt 1               ; addmm_aot.py:69:40
	s_waitcnt lgkmcnt(7)
	v_fmac_f32_e32 v31, s10, v5
	.loc	1 64 52                         ; addmm_aot.py:64:52
	v_lshl_add_u64 v[2:3], v[2:3], 2, v[18:19]
	.loc	1 71 21                         ; addmm_aot.py:71:21
	global_store_dword v[2:3], v31, off
.LBB0_143:
	.loc	1 0 21 is_stmt 0                ; addmm_aot.py:0:21
	s_or_b64 exec, exec, s[0:1]
	.loc	1 35 37 is_stmt 1               ; addmm_aot.py:35:37
	v_or_b32_e32 v2, 8, v32
	.loc	1 65 58                         ; addmm_aot.py:65:58
	v_cmp_gt_i32_e64 s[0:1], s13, v2
	.loc	1 65 39 is_stmt 0               ; addmm_aot.py:65:39
	s_and_b64 s[2:3], vcc, s[0:1]
	.loc	1 71 21 is_stmt 1               ; addmm_aot.py:71:21
	s_and_saveexec_b64 s[0:1], s[2:3]
	s_cbranch_execz .LBB0_145
; %bb.144:
	.loc	1 64 64                         ; addmm_aot.py:64:64
	v_mul_lo_u32 v2, v2, s19
	.loc	1 64 52 is_stmt 0               ; addmm_aot.py:64:52
	v_ashrrev_i32_e32 v3, 31, v2
	.loc	1 69 40 is_stmt 1               ; addmm_aot.py:69:40
	s_waitcnt lgkmcnt(6)
	v_fma_f32 v4, s10, v6, v28
	.loc	1 64 52                         ; addmm_aot.py:64:52
	v_lshl_add_u64 v[2:3], v[2:3], 2, v[18:19]
	.loc	1 71 21                         ; addmm_aot.py:71:21
	global_store_dword v[2:3], v4, off
.LBB0_145:
	.loc	1 0 21 is_stmt 0                ; addmm_aot.py:0:21
	s_or_b64 exec, exec, s[0:1]
	.loc	1 35 37 is_stmt 1               ; addmm_aot.py:35:37
	v_or_b32_e32 v2, 9, v32
	.loc	1 65 58                         ; addmm_aot.py:65:58
	v_cmp_gt_i32_e64 s[0:1], s13, v2
	.loc	1 65 39 is_stmt 0               ; addmm_aot.py:65:39
	s_and_b64 s[2:3], vcc, s[0:1]
	.loc	1 71 21 is_stmt 1               ; addmm_aot.py:71:21
	s_and_saveexec_b64 s[0:1], s[2:3]
	s_cbranch_execz .LBB0_147
; %bb.146:
	.loc	1 64 64                         ; addmm_aot.py:64:64
	v_mul_lo_u32 v2, v2, s19
	.loc	1 64 52 is_stmt 0               ; addmm_aot.py:64:52
	v_ashrrev_i32_e32 v3, 31, v2
	.loc	1 69 40 is_stmt 1               ; addmm_aot.py:69:40
	s_waitcnt lgkmcnt(6)
	v_fmac_f32_e32 v29, s10, v7
	.loc	1 64 52                         ; addmm_aot.py:64:52
	v_lshl_add_u64 v[2:3], v[2:3], 2, v[18:19]
	.loc	1 71 21                         ; addmm_aot.py:71:21
	global_store_dword v[2:3], v29, off
.LBB0_147:
	;; [unrolled: 48-line block ×6, first 2 shown]
	.loc	1 0 21 is_stmt 0                ; addmm_aot.py:0:21
	s_or_b64 exec, exec, s[0:1]
	.loc	1 35 37 is_stmt 1               ; addmm_aot.py:35:37
	v_or_b32_e32 v2, 26, v32
	.loc	1 65 58                         ; addmm_aot.py:65:58
	v_cmp_gt_i32_e64 s[0:1], s13, v2
	.loc	1 65 39 is_stmt 0               ; addmm_aot.py:65:39
	s_and_b64 s[2:3], vcc, s[0:1]
	.loc	1 71 21 is_stmt 1               ; addmm_aot.py:71:21
	s_and_saveexec_b64 s[0:1], s[2:3]
	s_cbranch_execz .LBB0_165
; %bb.164:
	.loc	1 64 64                         ; addmm_aot.py:64:64
	v_mul_lo_u32 v2, v2, s19
	.loc	1 64 52 is_stmt 0               ; addmm_aot.py:64:52
	v_ashrrev_i32_e32 v3, 31, v2
	.loc	1 69 40 is_stmt 1               ; addmm_aot.py:69:40
	s_waitcnt lgkmcnt(0)
	v_fma_f32 v0, s10, v16, v0
	.loc	1 64 52                         ; addmm_aot.py:64:52
	v_lshl_add_u64 v[2:3], v[2:3], 2, v[18:19]
	.loc	1 71 21                         ; addmm_aot.py:71:21
	global_store_dword v[2:3], v0, off
.LBB0_165:
	.loc	1 0 21 is_stmt 0                ; addmm_aot.py:0:21
	s_or_b64 exec, exec, s[0:1]
	.loc	1 35 37 is_stmt 1               ; addmm_aot.py:35:37
	s_waitcnt lgkmcnt(0)
	v_or_b32_e32 v0, 27, v32
	.loc	1 65 58                         ; addmm_aot.py:65:58
	v_cmp_gt_i32_e64 s[0:1], s13, v0
	.loc	1 65 39 is_stmt 0               ; addmm_aot.py:65:39
	s_and_b64 s[0:1], vcc, s[0:1]
	.loc	1 71 21 is_stmt 1               ; addmm_aot.py:71:21
	s_and_saveexec_b64 s[2:3], s[0:1]
	s_cbranch_execz .LBB0_167
; %bb.166:
	.loc	1 64 64                         ; addmm_aot.py:64:64
	v_mul_lo_u32 v2, v0, s19
	.loc	1 64 52 is_stmt 0               ; addmm_aot.py:64:52
	v_ashrrev_i32_e32 v3, 31, v2
	.loc	1 69 40 is_stmt 1               ; addmm_aot.py:69:40
	v_fmac_f32_e32 v1, s10, v17
	.loc	1 64 52                         ; addmm_aot.py:64:52
	v_lshl_add_u64 v[2:3], v[2:3], 2, v[18:19]
	.loc	1 71 21                         ; addmm_aot.py:71:21
	global_store_dword v[2:3], v1, off
.LBB0_167:
	.loc	1 71 4 is_stmt 0                ; addmm_aot.py:71:4
	s_endpgm
.Ltmp6:
	.section	.rodata,"a",@progbits
	.p2align	6, 0x0
	.amdhsa_kernel addmm_kernel
		.amdhsa_group_segment_fixed_size 0
		.amdhsa_private_segment_fixed_size 0
		.amdhsa_kernarg_size 104
		.amdhsa_user_sgpr_count 16
		.amdhsa_user_sgpr_dispatch_ptr 0
		.amdhsa_user_sgpr_queue_ptr 0
		.amdhsa_user_sgpr_kernarg_segment_ptr 1
		.amdhsa_user_sgpr_dispatch_id 0
		.amdhsa_user_sgpr_kernarg_preload_length 14
		.amdhsa_user_sgpr_kernarg_preload_offset 0
		.amdhsa_user_sgpr_private_segment_size 0
		.amdhsa_uses_dynamic_stack 0
		.amdhsa_enable_private_segment 0
		.amdhsa_system_sgpr_workgroup_id_x 1
		.amdhsa_system_sgpr_workgroup_id_y 1
		.amdhsa_system_sgpr_workgroup_id_z 0
		.amdhsa_system_sgpr_workgroup_info 0
		.amdhsa_system_vgpr_workitem_id 0
		.amdhsa_next_free_vgpr 96
		.amdhsa_next_free_sgpr 62
		.amdhsa_accum_offset 96
		.amdhsa_reserve_vcc 1
		.amdhsa_reserve_xnack_mask 1
		.amdhsa_float_round_mode_32 0
		.amdhsa_float_round_mode_16_64 0
		.amdhsa_float_denorm_mode_32 3
		.amdhsa_float_denorm_mode_16_64 3
		.amdhsa_dx10_clamp 1
		.amdhsa_ieee_mode 1
		.amdhsa_fp16_overflow 0
		.amdhsa_tg_split 0
		.amdhsa_exception_fp_ieee_invalid_op 0
		.amdhsa_exception_fp_denorm_src 0
		.amdhsa_exception_fp_ieee_div_zero 0
		.amdhsa_exception_fp_ieee_overflow 0
		.amdhsa_exception_fp_ieee_underflow 0
		.amdhsa_exception_fp_ieee_inexact 0
		.amdhsa_exception_int_div_zero 0
	.end_amdhsa_kernel
	.text
.Lfunc_end0:
	.size	addmm_kernel, .Lfunc_end0-addmm_kernel
	.cfi_endproc
                                        ; -- End function
	.set addmm_kernel.num_vgpr, 96
	.set addmm_kernel.num_agpr, 0
	.set addmm_kernel.numbered_sgpr, 62
	.set addmm_kernel.num_named_barrier, 0
	.set addmm_kernel.private_seg_size, 0
	.set addmm_kernel.uses_vcc, 1
	.set addmm_kernel.uses_flat_scratch, 0
	.set addmm_kernel.has_dyn_sized_stack, 0
	.set addmm_kernel.has_recursion, 0
	.set addmm_kernel.has_indirect_call, 0
	.section	.AMDGPU.csdata,"",@progbits
; Kernel info:
; codeLenInByte = 7320
; TotalNumSgprs: 68
; NumVgprs: 96
; NumAgprs: 0
; TotalNumVgprs: 96
; ScratchSize: 0
; MemoryBound: 0
; FloatMode: 240
; IeeeMode: 1
; LDSByteSize: 0 bytes/workgroup (compile time only)
; SGPRBlocks: 8
; VGPRBlocks: 11
; NumSGPRsForWavesPerEU: 68
; NumVGPRsForWavesPerEU: 96
; AccumOffset: 96
; Occupancy: 5
; WaveLimiterHint : 0
; COMPUTE_PGM_RSRC2:SCRATCH_EN: 0
; COMPUTE_PGM_RSRC2:USER_SGPR: 16
; COMPUTE_PGM_RSRC2:TRAP_HANDLER: 0
; COMPUTE_PGM_RSRC2:TGID_X_EN: 1
; COMPUTE_PGM_RSRC2:TGID_Y_EN: 1
; COMPUTE_PGM_RSRC2:TGID_Z_EN: 0
; COMPUTE_PGM_RSRC2:TIDIG_COMP_CNT: 0
; COMPUTE_PGM_RSRC3_GFX90A:ACCUM_OFFSET: 23
; COMPUTE_PGM_RSRC3_GFX90A:TG_SPLIT: 0
	.text
	.p2alignl 6, 3212836864
	.fill 256, 4, 3212836864
	.section	.AMDGPU.gpr_maximums,"",@progbits
	.set amdgpu.max_num_vgpr, 0
	.set amdgpu.max_num_agpr, 0
	.set amdgpu.max_num_sgpr, 0
	.set amdgpu.max_num_named_barrier, 0
	.text
	.section	.debug_abbrev,"",@progbits
	.byte	1                               ; Abbreviation Code
	.byte	17                              ; DW_TAG_compile_unit
	.byte	1                               ; DW_CHILDREN_yes
	.byte	37                              ; DW_AT_producer
	.byte	14                              ; DW_FORM_strp
	.byte	19                              ; DW_AT_language
	.byte	5                               ; DW_FORM_data2
	.byte	3                               ; DW_AT_name
	.byte	14                              ; DW_FORM_strp
	.byte	16                              ; DW_AT_stmt_list
	.byte	23                              ; DW_FORM_sec_offset
	.byte	27                              ; DW_AT_comp_dir
	.byte	14                              ; DW_FORM_strp
	.byte	17                              ; DW_AT_low_pc
	.byte	1                               ; DW_FORM_addr
	.byte	18                              ; DW_AT_high_pc
	.byte	6                               ; DW_FORM_data4
	.byte	0                               ; EOM(1)
	.byte	0                               ; EOM(2)
	.byte	2                               ; Abbreviation Code
	.byte	46                              ; DW_TAG_subprogram
	.byte	0                               ; DW_CHILDREN_no
	.byte	3                               ; DW_AT_name
	.byte	14                              ; DW_FORM_strp
	.byte	32                              ; DW_AT_inline
	.byte	11                              ; DW_FORM_data1
	.byte	0                               ; EOM(1)
	.byte	0                               ; EOM(2)
	.byte	3                               ; Abbreviation Code
	.byte	46                              ; DW_TAG_subprogram
	.byte	1                               ; DW_CHILDREN_yes
	.byte	17                              ; DW_AT_low_pc
	.byte	1                               ; DW_FORM_addr
	.byte	18                              ; DW_AT_high_pc
	.byte	6                               ; DW_FORM_data4
	.byte	49                              ; DW_AT_abstract_origin
	.byte	19                              ; DW_FORM_ref4
	.byte	0                               ; EOM(1)
	.byte	0                               ; EOM(2)
	.byte	4                               ; Abbreviation Code
	.byte	29                              ; DW_TAG_inlined_subroutine
	.byte	0                               ; DW_CHILDREN_no
	.byte	49                              ; DW_AT_abstract_origin
	.byte	19                              ; DW_FORM_ref4
	.byte	85                              ; DW_AT_ranges
	.byte	23                              ; DW_FORM_sec_offset
	.byte	88                              ; DW_AT_call_file
	.byte	11                              ; DW_FORM_data1
	.byte	89                              ; DW_AT_call_line
	.byte	11                              ; DW_FORM_data1
	.byte	87                              ; DW_AT_call_column
	.byte	11                              ; DW_FORM_data1
	.byte	0                               ; EOM(1)
	.byte	0                               ; EOM(2)
	;; [unrolled: 1-line block ×3, first 2 shown]
	.section	.debug_info,"",@progbits
.Lcu_begin0:
	.long	.Ldebug_info_end0-.Ldebug_info_start0 ; Length of Unit
.Ldebug_info_start0:
	.short	4                               ; DWARF version number
	.long	.debug_abbrev                   ; Offset Into Abbrev. Section
	.byte	8                               ; Address Size (in bytes)
	.byte	1                               ; Abbrev [1] 0xb:0x44 DW_TAG_compile_unit
	.long	.Linfo_string0                  ; DW_AT_producer
	.short	2                               ; DW_AT_language
	.long	.Linfo_string1                  ; DW_AT_name
	.long	.Lline_table_start0             ; DW_AT_stmt_list
	.long	.Linfo_string2                  ; DW_AT_comp_dir
	.quad	.Lfunc_begin0                   ; DW_AT_low_pc
	.long	.Lfunc_end0-.Lfunc_begin0       ; DW_AT_high_pc
	.byte	2                               ; Abbrev [2] 0x2a:0x6 DW_TAG_subprogram
	.long	.Linfo_string3                  ; DW_AT_name
	.byte	1                               ; DW_AT_inline
	.byte	3                               ; Abbrev [3] 0x30:0x1e DW_TAG_subprogram
	.quad	.Lfunc_begin0                   ; DW_AT_low_pc
	.long	.Lfunc_end0-.Lfunc_begin0       ; DW_AT_high_pc
	.long	42                              ; DW_AT_abstract_origin
	.byte	4                               ; Abbrev [4] 0x41:0xc DW_TAG_inlined_subroutine
	.long	42                              ; DW_AT_abstract_origin
	.long	.Ldebug_ranges0                 ; DW_AT_ranges
	.byte	1                               ; DW_AT_call_file
	.byte	44                              ; DW_AT_call_line
	.byte	33                              ; DW_AT_call_column
	.byte	0                               ; End Of Children Mark
	.byte	0                               ; End Of Children Mark
.Ldebug_info_end0:
	.section	.debug_ranges,"",@progbits
.Ldebug_ranges0:
	.quad	.Ltmp2-.Lfunc_begin0
	.quad	.Ltmp3-.Lfunc_begin0
	;; [unrolled: 1-line block ×4, first 2 shown]
	.quad	0
	.quad	0
	.section	.debug_str,"MS",@progbits,1
.Linfo_string0:
	.asciz	"triton"                        ; string offset=0
.Linfo_string1:
	.asciz	"addmm_aot.py"                  ; string offset=7
.Linfo_string2:
	.asciz	"/root/src/amdgpu-assembly/repos/FlagOpen__FlagGems/triton_aot_kernels" ; string offset=20
.Linfo_string3:
	.asciz	"addmm_kernel"                  ; string offset=90
	.section	".note.GNU-stack","",@progbits
	.amdgpu_metadata
---
amdhsa.kernels:
  - .agpr_count:     0
    .args:
      - .address_space:  global
        .offset:         0
        .size:           8
        .value_kind:     global_buffer
      - .address_space:  global
        .offset:         8
        .size:           8
        .value_kind:     global_buffer
      - .address_space:  global
        .offset:         16
        .size:           8
        .value_kind:     global_buffer
      - .address_space:  global
        .offset:         24
        .size:           8
        .value_kind:     global_buffer
      - .offset:         32
        .size:           4
        .value_kind:     by_value
      - .offset:         36
        .size:           4
        .value_kind:     by_value
      - .offset:         40
        .size:           4
        .value_kind:     by_value
      - .offset:         44
        .size:           4
        .value_kind:     by_value
      - .offset:         48
        .size:           4
        .value_kind:     by_value
      - .offset:         52
        .size:           4
        .value_kind:     by_value
      - .offset:         56
        .size:           4
        .value_kind:     by_value
      - .offset:         60
        .size:           4
        .value_kind:     by_value
      - .offset:         64
        .size:           4
        .value_kind:     by_value
      - .offset:         68
        .size:           4
        .value_kind:     by_value
      - .offset:         72
        .size:           4
        .value_kind:     by_value
      - .offset:         76
        .size:           4
        .value_kind:     by_value
      - .offset:         80
        .size:           4
        .value_kind:     by_value
      - .address_space:  global
        .offset:         88
        .size:           8
        .value_kind:     global_buffer
      - .address_space:  global
        .offset:         96
        .size:           8
        .value_kind:     global_buffer
    .group_segment_fixed_size: 0
    .kernarg_segment_align: 8
    .kernarg_segment_size: 104
    .max_flat_workgroup_size: 256
    .name:           addmm_kernel
    .private_segment_fixed_size: 0
    .sgpr_count:     68
    .sgpr_spill_count: 0
    .symbol:         addmm_kernel.kd
    .uniform_work_group_size: 1
    .uses_dynamic_stack: false
    .vgpr_count:     96
    .vgpr_spill_count: 0
    .wavefront_size: 64
amdhsa.target:   amdgcn-amd-amdhsa--gfx950
amdhsa.version:
  - 1
  - 2
...

	.end_amdgpu_metadata
	.section	.debug_line,"",@progbits
.Lline_table_start0:
